;; amdgpu-corpus repo=ROCm/rccl kind=compiled arch=gfx906 opt=O3
	.amdgcn_target "amdgcn-amd-amdhsa--gfx906"
	.amdhsa_code_object_version 6
	.text
	.p2align	2                               ; -- Begin function _ZN12_GLOBAL__N_17runRingI14__hip_fp8_e5m210FuncMinMaxIS1_E7ProtoLLLi0ELi1ELi0EEEviiP15ncclDevWorkColl
	.type	_ZN12_GLOBAL__N_17runRingI14__hip_fp8_e5m210FuncMinMaxIS1_E7ProtoLLLi0ELi1ELi0EEEviiP15ncclDevWorkColl,@function
_ZN12_GLOBAL__N_17runRingI14__hip_fp8_e5m210FuncMinMaxIS1_E7ProtoLLLi0ELi1ELi0EEEviiP15ncclDevWorkColl: ; @_ZN12_GLOBAL__N_17runRingI14__hip_fp8_e5m210FuncMinMaxIS1_E7ProtoLLLi0ELi1ELi0EEEviiP15ncclDevWorkColl
; %bb.0:
	s_waitcnt vmcnt(0) expcnt(0) lgkmcnt(0)
	s_or_saveexec_b64 s[4:5], -1
	buffer_store_dword v63, off, s[0:3], s32 offset:268 ; 4-byte Folded Spill
	s_mov_b64 exec, s[4:5]
	buffer_store_dword v40, off, s[0:3], s32 offset:56 ; 4-byte Folded Spill
	buffer_store_dword v41, off, s[0:3], s32 offset:52 ; 4-byte Folded Spill
	;; [unrolled: 1-line block ×14, first 2 shown]
	buffer_store_dword v62, off, s[0:3], s32 ; 4-byte Folded Spill
	v_writelane_b32 v63, s34, 0
	v_writelane_b32 v63, s35, 1
	;; [unrolled: 1-line block ×16, first 2 shown]
	s_trap 2
	flat_load_dword v6, v[2:3]
	flat_load_dwordx4 v[36:39], v[2:3] offset:72
	flat_load_dwordx2 v[17:18], v[2:3] offset:88
	v_mov_b32_e32 v11, v0
	ds_read_b32 v4, v0
	s_waitcnt lgkmcnt(0)
	v_readfirstlane_b32 s22, v4
	s_waitcnt vmcnt(0)
	v_not_b32_sdwa v5, v6 dst_sel:DWORD dst_unused:UNUSED_PAD src0_sel:BYTE_0
	v_add_u32_sdwa v0, v6, v5 dst_sel:DWORD dst_unused:UNUSED_PAD src0_sel:BYTE_1 src1_sel:DWORD
	v_ashrrev_i32_e32 v7, 31, v0
	v_mul_lo_u32 v8, v39, v0
	v_mad_u64_u32 v[19:20], s[4:5], v38, v0, 0
	v_mul_lo_u32 v0, v38, v7
	v_cmp_ne_u32_sdwa s[4:5], v4, v6 src0_sel:DWORD src1_sel:BYTE_0
	ds_read_b64 v[44:45], v0
	v_add3_u32 v0, v20, v0, v8
                                        ; implicit-def: $vgpr20_vgpr21
                                        ; implicit-def: $vgpr7_vgpr8
                                        ; kill: killed $vgpr7_vgpr8
	s_and_saveexec_b64 s[6:7], s[4:5]
	s_xor_b64 s[4:5], exec, s[6:7]
	s_cbranch_execz .LBB0_6
; %bb.1:
	v_cmp_ne_u32_sdwa s[6:7], v4, v6 src0_sel:DWORD src1_sel:BYTE_1
                                        ; implicit-def: $vgpr20_vgpr21
                                        ; implicit-def: $vgpr6_vgpr7
                                        ; kill: killed $vgpr6_vgpr7
	s_and_saveexec_b64 s[10:11], s[6:7]
	s_xor_b64 s[6:7], exec, s[10:11]
	s_cbranch_execz .LBB0_3
; %bb.2:
	flat_load_dwordx2 v[6:7], v[2:3] offset:96
	v_add_u32_e32 v4, v4, v5
	v_ashrrev_i32_e32 v5, 31, v4
	v_mul_lo_u32 v5, v38, v5
	v_mul_lo_u32 v8, v39, v4
	v_mad_u64_u32 v[9:10], s[10:11], v38, v4, v[36:37]
	v_add3_u32 v10, v8, v10, v5
	buffer_store_dword v9, off, s[0:3], s32 offset:156 ; 4-byte Folded Spill
	s_nop 0
	buffer_store_dword v10, off, s[0:3], s32 offset:160 ; 4-byte Folded Spill
	s_waitcnt vmcnt(0) lgkmcnt(0)
	v_lshrrev_b64 v[20:21], 17, v[6:7]
.LBB0_3:
	s_andn2_saveexec_b64 s[6:7], s[6:7]
	s_cbranch_execz .LBB0_5
; %bb.4:
	flat_load_dword v4, v[2:3] offset:100
	v_add_co_u32_e32 v5, vcc, v19, v36
	v_mov_b32_e32 v39, v18
	v_addc_co_u32_e32 v6, vcc, v0, v37, vcc
	v_mov_b32_e32 v38, v17
	buffer_store_dword v5, off, s[0:3], s32 offset:156 ; 4-byte Folded Spill
	s_nop 0
	buffer_store_dword v6, off, s[0:3], s32 offset:160 ; 4-byte Folded Spill
	s_waitcnt vmcnt(0) lgkmcnt(0)
	v_lshrrev_b32_e32 v20, 6, v4
.LBB0_5:
	s_or_b64 exec, exec, s[6:7]
.LBB0_6:
	s_andn2_saveexec_b64 s[4:5], s[4:5]
	s_cbranch_execz .LBB0_8
; %bb.7:
	flat_load_dwordx2 v[4:5], v[2:3] offset:96
	v_mov_b32_e32 v39, v37
	v_mov_b32_e32 v38, v36
	s_waitcnt vmcnt(0) lgkmcnt(0)
	v_lshlrev_b64 v[20:21], 4, v[4:5]
	v_mov_b32_e32 v4, 0
	v_mov_b32_e32 v5, 0
	buffer_store_dword v4, off, s[0:3], s32 offset:156 ; 4-byte Folded Spill
	s_nop 0
	buffer_store_dword v5, off, s[0:3], s32 offset:160 ; 4-byte Folded Spill
.LBB0_8:
	s_or_b64 exec, exec, s[4:5]
	flat_load_dwordx2 v[27:28], v[2:3] offset:104
	flat_load_ushort v5, v[2:3] offset:8
	flat_load_dword v4, v[2:3] offset:4
	flat_load_dwordx4 v[6:9], v[2:3] offset:16
	s_load_dword s4, s[8:9], 0x0
	v_mov_b32_e32 v3, 0
	v_mov_b32_e32 v23, 0
	s_mov_b32 s6, 0
	v_mov_b32_e32 v24, 0
	s_waitcnt lgkmcnt(0)
	s_cmp_lt_u32 s12, s4
	s_cselect_b32 s4, 12, 18
	s_add_u32 s4, s8, s4
	s_addc_u32 s5, s9, 0
	s_waitcnt vmcnt(0)
	buffer_store_dword v6, off, s[0:3], s32 offset:204 ; 4-byte Folded Spill
	s_nop 0
	buffer_store_dword v7, off, s[0:3], s32 offset:208 ; 4-byte Folded Spill
	buffer_store_dword v8, off, s[0:3], s32 offset:212 ; 4-byte Folded Spill
	;; [unrolled: 1-line block ×3, first 2 shown]
	global_load_ushort v12, v3, s[4:5]
	s_trap 2
	ds_read_b32 v2, v0
	v_lshrrev_b64 v[4:5], 31, v[4:5]
	v_and_b32_e32 v5, 3, v4
	v_and_b32_e32 v4, 63, v11
	s_waitcnt lgkmcnt(0)
	v_cmp_gt_i32_e32 vcc, 0, v2
	v_readfirstlane_b32 s8, v2
	v_cmp_eq_u32_e64 s[4:5], 0, v4
	s_cbranch_vccnz .LBB0_10
; %bb.9:
	s_trap 2
	ds_read_b64 v[6:7], v0
	v_lshlrev_b64 v[2:3], 3, v[2:3]
	s_movk_i32 s6, 0xa8
	s_waitcnt lgkmcnt(0)
	v_add_co_u32_e32 v2, vcc, v6, v2
	v_addc_co_u32_e32 v3, vcc, v7, v3, vcc
	flat_load_dwordx2 v[2:3], v[2:3]
	v_and_b32_e32 v6, 0xffff, v5
	s_waitcnt vmcnt(0) lgkmcnt(0)
	v_mad_u64_u32 v[2:3], s[6:7], v6, s6, v[2:3]
	s_mov_b32 s6, 1
	flat_load_dwordx2 v[6:7], v[2:3] offset:504
	v_add_co_u32_e32 v25, vcc, 0x1f8, v2
	v_addc_co_u32_e32 v26, vcc, 0, v3, vcc
	s_waitcnt vmcnt(0) lgkmcnt(0)
	buffer_store_dword v6, off, s[0:3], s32 offset:100 ; 4-byte Folded Spill
	s_nop 0
	buffer_store_dword v7, off, s[0:3], s32 offset:104 ; 4-byte Folded Spill
	flat_load_dwordx2 v[34:35], v[2:3] offset:608
	v_cndmask_b32_e64 v3, 0, v26, s[4:5]
	v_cndmask_b32_e64 v2, 0, v25, s[4:5]
	s_branch .LBB0_11
.LBB0_10:
	v_mov_b32_e32 v25, 0
	v_mov_b32_e32 v2, 0
	v_mov_b32_e32 v26, 0
	v_mov_b32_e32 v3, 0
                                        ; implicit-def: $vgpr34_vgpr35
                                        ; implicit-def: $vgpr6_vgpr7
                                        ; kill: killed $vgpr6_vgpr7
.LBB0_11:
	s_trap 2
	ds_read_b32 v9, v0
	s_waitcnt lgkmcnt(0)
	v_cmp_gt_i32_e32 vcc, 0, v9
	s_cbranch_vccnz .LBB0_13
; %bb.12:
	s_trap 2
	ds_read_b64 v[6:7], v0
	v_mov_b32_e32 v10, 0
	v_lshlrev_b64 v[8:9], 3, v[9:10]
	v_and_b32_e32 v5, 0xffff, v5
	s_movk_i32 s4, 0xa8
	s_waitcnt lgkmcnt(0)
	v_add_co_u32_e32 v6, vcc, v6, v8
	v_addc_co_u32_e32 v7, vcc, v7, v9, vcc
	flat_load_dwordx2 v[6:7], v[6:7]
	v_cmp_eq_u32_e32 vcc, 0, v4
	s_waitcnt vmcnt(0) lgkmcnt(0)
	v_mad_u64_u32 v[23:24], s[4:5], v5, s4, v[6:7]
	flat_load_dwordx2 v[5:6], v[23:24]
	v_cndmask_b32_e32 v10, 0, v24, vcc
	v_cndmask_b32_e32 v9, 0, v23, vcc
	s_waitcnt vmcnt(0) lgkmcnt(0)
	buffer_store_dword v5, off, s[0:3], s32 offset:68 ; 4-byte Folded Spill
	s_nop 0
	buffer_store_dword v6, off, s[0:3], s32 offset:72 ; 4-byte Folded Spill
	flat_load_dwordx2 v[21:22], v[23:24] offset:104
	s_branch .LBB0_14
.LBB0_13:
	v_mov_b32_e32 v9, 0
	v_mov_b32_e32 v10, 0
                                        ; implicit-def: $vgpr21_vgpr22
                                        ; implicit-def: $vgpr5_vgpr6
                                        ; kill: killed $vgpr5_vgpr6
.LBB0_14:
	v_subrev_u32_e32 v5, 64, v1
	v_cmp_ge_i32_e32 vcc, v11, v5
	v_cmp_gt_u32_e64 s[4:5], s6, v4
	v_mov_b32_e32 v13, 0
	v_mov_b32_e32 v4, 0
	;; [unrolled: 1-line block ×4, first 2 shown]
	s_and_b64 s[24:25], vcc, s[4:5]
	buffer_store_dword v4, off, s[0:3], s32 offset:92 ; 4-byte Folded Spill
	s_nop 0
	buffer_store_dword v5, off, s[0:3], s32 offset:96 ; 4-byte Folded Spill
                                        ; implicit-def: $vgpr60_vgpr61
	s_and_saveexec_b64 s[4:5], s[24:25]
	s_cbranch_execz .LBB0_16
; %bb.15:
	flat_load_dwordx2 v[4:5], v[2:3] offset:56
	s_waitcnt vmcnt(0) lgkmcnt(0)
	buffer_store_dword v4, off, s[0:3], s32 offset:92 ; 4-byte Folded Spill
	s_nop 0
	buffer_store_dword v5, off, s[0:3], s32 offset:96 ; 4-byte Folded Spill
	flat_load_dwordx2 v[60:61], v[2:3] offset:104
.LBB0_16:
	s_or_b64 exec, exec, s[4:5]
	v_mov_b32_e32 v50, 0
	v_mov_b32_e32 v51, 0
	v_cmp_gt_u32_e64 s[4:5], s6, v11
                                        ; implicit-def: $vgpr52_vgpr53
	s_and_saveexec_b64 s[6:7], s[4:5]
	s_cbranch_execz .LBB0_18
; %bb.17:
	flat_load_dwordx2 v[50:51], v[9:10] offset:56
	s_waitcnt vmcnt(0) lgkmcnt(0)
	flat_load_dwordx2 v[52:53], v[50:51] glc
	s_waitcnt vmcnt(0)
	flat_load_dwordx4 v[13:16], v[9:10] offset:96
.LBB0_18:
	s_or_b64 exec, exec, s[6:7]
	v_mov_b32_e32 v40, 0
	v_cmp_ne_u64_e32 vcc, 0, v[38:39]
	v_mov_b32_e32 v41, 0
	s_and_saveexec_b64 s[26:27], vcc
	s_cbranch_execz .LBB0_1106
; %bb.19:
	v_add_co_u32_e32 v2, vcc, v17, v36
	s_ashr_i32 s6, s8, 31
	v_addc_co_u32_e32 v3, vcc, v18, v37, vcc
	s_lshr_b32 s6, s6, 29
	v_add_co_u32_e32 v2, vcc, v2, v19
	s_ashr_i32 s23, s22, 31
	s_add_i32 s8, s8, s6
	v_addc_co_u32_e32 v0, vcc, v3, v0, vcc
	s_lshl_b64 s[6:7], s[22:23], 2
	buffer_store_dword v25, off, s[0:3], s32 offset:260 ; 4-byte Folded Spill
	s_nop 0
	buffer_store_dword v26, off, s[0:3], s32 offset:264 ; 4-byte Folded Spill
	buffer_store_dword v23, off, s[0:3], s32 offset:252 ; 4-byte Folded Spill
	s_nop 0
	buffer_store_dword v24, off, s[0:3], s32 offset:256 ; 4-byte Folded Spill
	buffer_store_dword v2, off, s[0:3], s32 offset:84 ; 4-byte Folded Spill
	;; [unrolled: 1-line block ×3, first 2 shown]
	v_mov_b32_e32 v0, s7
	v_add_co_u32_e32 v2, vcc, s6, v44
	v_addc_co_u32_e32 v0, vcc, v45, v0, vcc
	v_add_co_u32_e32 v2, vcc, -4, v2
	v_addc_co_u32_e32 v3, vcc, -1, v0, vcc
	v_and_b32_e32 v0, 63, v31
	v_cmp_eq_u32_e64 s[12:13], 0, v0
	v_lshrrev_b32_e32 v0, 6, v1
	buffer_store_dword v2, off, s[0:3], s32 offset:188 ; 4-byte Folded Spill
	s_nop 0
	buffer_store_dword v3, off, s[0:3], s32 offset:192 ; 4-byte Folded Spill
	s_waitcnt vmcnt(0)
	buffer_store_dword v12, off, s[0:3], s32 offset:248 ; 4-byte Folded Spill
	buffer_store_dword v31, off, s[0:3], s32 offset:244 ; 4-byte Folded Spill
	;; [unrolled: 1-line block ×3, first 2 shown]
	buffer_load_dword v2, off, s[0:3], s32 offset:204 ; 4-byte Folded Reload
	buffer_load_dword v3, off, s[0:3], s32 offset:208 ; 4-byte Folded Reload
	;; [unrolled: 1-line block ×4, first 2 shown]
	v_lshlrev_b32_e32 v8, 3, v11
	s_ashr_i32 s10, s8, 3
	s_and_b32 s23, s10, -16
	v_cmp_ne_u32_e64 s[10:11], 64, v1
	v_cmp_ne_u32_sdwa s[42:43], v1, v12 src0_sel:DWORD src1_sel:WORD_0
	v_lshlrev_b32_e32 v26, 3, v1
	v_lshlrev_b32_e32 v30, 6, v1
	v_mov_b32_e32 v59, 0
	v_mov_b32_e32 v12, v59
	s_ashr_i32 s38, s8, 7
	v_cmp_ne_u64_e64 s[6:7], 0, v[50:51]
	s_waitcnt lgkmcnt(0)
	v_cmp_ne_u64_e64 s[8:9], 0, v[13:14]
	s_cmp_gt_i32 s22, 2
	s_mov_b32 s56, -1
	v_mov_b32_e32 v36, 0
	v_mov_b32_e32 v40, 0
	v_and_b32_e32 v23, 0x1fffff0, v20
	s_mov_b32 s29, 0
	v_mov_b32_e32 v24, v59
	s_mov_b64 s[40:41], 0
	s_cselect_b64 s[44:45], -1, 0
	s_mov_b64 s[46:47], 0x7ffffff8
	s_movk_i32 s39, 0xff
	s_movk_i32 s48, 0xff80
	;; [unrolled: 1-line block ×3, first 2 shown]
	s_mov_b32 s57, 0xffffff
	s_mov_b64 s[58:59], 0x7f800000
	s_movk_i32 s50, 0x80
	s_mov_b64 s[60:61], 0x47600001
	s_movk_i32 s51, 0x72
	;; [unrolled: 2-line block ×3, first 2 shown]
	s_mov_b32 s53, 0x7c0000
	s_brev_b32 s54, 62
	v_mov_b32_e32 v43, -1
	v_mov_b32_e32 v54, 0x7f800000
	v_mov_b32_e32 v55, 0x7f800001
	;; [unrolled: 1-line block ×4, first 2 shown]
	v_bfrev_b32_e32 v49, 0.5
	v_mov_b32_e32 v31, 0x7c
	v_mov_b32_e32 v9, 0
	;; [unrolled: 1-line block ×4, first 2 shown]
	s_waitcnt vmcnt(1)
	v_add_co_u32_e32 v0, vcc, v4, v8
	buffer_store_dword v0, off, s[0:3], s32 offset:220 ; 4-byte Folded Spill
	s_waitcnt vmcnt(1)
	v_addc_co_u32_e32 v0, vcc, 0, v5, vcc
	buffer_store_dword v0, off, s[0:3], s32 offset:224 ; 4-byte Folded Spill
	v_and_b32_e32 v0, 1, v27
	v_cmp_eq_u32_e64 s[14:15], 1, v0
	v_add_co_u32_e32 v0, vcc, v2, v8
	buffer_load_dword v6, off, s[0:3], s32 offset:92 ; 4-byte Folded Reload
	buffer_load_dword v7, off, s[0:3], s32 offset:96 ; 4-byte Folded Reload
	s_waitcnt vmcnt(0)
	v_cmp_ne_u64_e64 s[16:17], 0, v[6:7]
	buffer_store_dword v0, off, s[0:3], s32 offset:228 ; 4-byte Folded Spill
	v_addc_co_u32_e32 v0, vcc, 0, v3, vcc
	buffer_store_dword v0, off, s[0:3], s32 offset:232 ; 4-byte Folded Spill
	buffer_load_dword v2, off, s[0:3], s32 offset:156 ; 4-byte Folded Reload
	buffer_load_dword v3, off, s[0:3], s32 offset:160 ; 4-byte Folded Reload
	s_waitcnt vmcnt(1)
	v_add_co_u32_e32 v0, vcc, v2, v4
	s_waitcnt vmcnt(0)
	v_addc_co_u32_e32 v2, vcc, v3, v5, vcc
	v_add_co_u32_e32 v32, vcc, v0, v8
	v_mov_b32_e32 v0, v11
	buffer_store_dword v8, off, s[0:3], s32 offset:152 ; 4-byte Folded Spill
	buffer_store_dword v0, off, s[0:3], s32 offset:60 ; 4-byte Folded Spill
	s_nop 0
	buffer_store_dword v1, off, s[0:3], s32 offset:64 ; 4-byte Folded Spill
	buffer_load_dword v4, off, s[0:3], s32 offset:68 ; 4-byte Folded Reload
	buffer_load_dword v5, off, s[0:3], s32 offset:72 ; 4-byte Folded Reload
	v_addc_co_u32_e32 v33, vcc, 0, v2, vcc
	v_lshlrev_b64 v[2:3], 4, v[11:12]
	v_mov_b32_e32 v8, 0xff800000
	s_waitcnt vmcnt(1)
	v_add_co_u32_e32 v0, vcc, v4, v2
	v_mov_b32_e32 v2, v59
	v_lshlrev_b64 v[11:12], 4, v[1:2]
	buffer_store_dword v0, off, s[0:3], s32 offset:236 ; 4-byte Folded Spill
	s_waitcnt vmcnt(1)
	v_addc_co_u32_e32 v0, vcc, v5, v3, vcc
	buffer_store_dword v0, off, s[0:3], s32 offset:240 ; 4-byte Folded Spill
	buffer_store_dword v36, off, s[0:3], s32 offset:164 ; 4-byte Folded Spill
	s_nop 0
	buffer_store_dword v37, off, s[0:3], s32 offset:168 ; 4-byte Folded Spill
	buffer_store_dword v38, off, s[0:3], s32 offset:172 ; 4-byte Folded Spill
	;; [unrolled: 1-line block ×4, first 2 shown]
	s_nop 0
	buffer_store_dword v45, off, s[0:3], s32 offset:120 ; 4-byte Folded Spill
	buffer_store_dword v23, off, s[0:3], s32 offset:180 ; 4-byte Folded Spill
	s_nop 0
	buffer_store_dword v24, off, s[0:3], s32 offset:184 ; 4-byte Folded Spill
	buffer_store_dword v30, off, s[0:3], s32 offset:196 ; 4-byte Folded Spill
	s_branch .LBB0_21
.LBB0_20:                               ;   in Loop: Header=BB0_21 Depth=1
	s_or_b64 exec, exec, s[18:19]
	v_add_co_u32_e32 v34, vcc, 1, v34
	v_addc_co_u32_e32 v35, vcc, 0, v35, vcc
	s_waitcnt vmcnt(0)
	v_add_co_u32_e32 v36, vcc, v36, v23
	v_addc_co_u32_e32 v37, vcc, 0, v37, vcc
	v_add_co_u32_e32 v32, vcc, v32, v23
	v_addc_co_u32_e32 v33, vcc, 0, v33, vcc
	v_cmp_ge_u64_e32 vcc, v[36:37], v[38:39]
	s_or_b64 s[40:41], vcc, s[40:41]
	s_andn2_b64 exec, exec, s[40:41]
	s_cbranch_execz .LBB0_1105
.LBB0_21:                               ; =>This Loop Header: Depth=1
                                        ;     Child Loop BB0_26 Depth 2
                                        ;     Child Loop BB0_45 Depth 2
                                        ;     Child Loop BB0_59 Depth 2
                                        ;     Child Loop BB0_66 Depth 2
                                        ;     Child Loop BB0_70 Depth 2
                                        ;       Child Loop BB0_75 Depth 3
                                        ;       Child Loop BB0_94 Depth 3
	;; [unrolled: 1-line block ×3, first 2 shown]
                                        ;         Child Loop BB0_123 Depth 4
                                        ;       Child Loop BB0_586 Depth 3
                                        ;       Child Loop BB0_111 Depth 3
                                        ;     Child Loop BB0_601 Depth 2
                                        ;       Child Loop BB0_609 Depth 3
                                        ;     Child Loop BB0_1092 Depth 2
	buffer_load_dword v2, off, s[0:3], s32 offset:188 ; 4-byte Folded Reload
	buffer_load_dword v3, off, s[0:3], s32 offset:192 ; 4-byte Folded Reload
	s_waitcnt vmcnt(0) lgkmcnt(0)
	flat_load_dword v0, v[2:3]
	v_sub_co_u32_e32 v2, vcc, v38, v36
	v_subb_co_u32_e32 v3, vcc, v39, v37, vcc
	v_cmp_lt_u64_e32 vcc, v[23:24], v[2:3]
	v_cndmask_b32_e32 v2, v2, v23, vcc
	v_lshl_add_u32 v3, v2, 1, 14
	v_and_b32_e32 v3, 0x7fffff0, v3
	buffer_store_dword v3, off, s[0:3], s32 offset:124 ; 4-byte Folded Spill
	s_and_saveexec_b64 s[20:21], s[6:7]
	s_cbranch_execz .LBB0_37
; %bb.22:                               ;   in Loop: Header=BB0_21 Depth=1
	v_add_co_u32_e32 v17, vcc, 1, v15
	v_addc_co_u32_e32 v18, vcc, 0, v16, vcc
	v_add_co_u32_e32 v3, vcc, 8, v52
	v_addc_co_u32_e32 v4, vcc, 0, v53, vcc
	v_cmp_lt_u64_e32 vcc, v[3:4], v[17:18]
	s_and_saveexec_b64 s[72:73], vcc
	s_cbranch_execz .LBB0_34
; %bb.23:                               ;   in Loop: Header=BB0_21 Depth=1
	s_mov_b32 s28, 0
	v_cmp_eq_u32_e32 vcc, 0, v9
	s_mov_b64 s[74:75], 0
                                        ; implicit-def: $sgpr76_sgpr77
                                        ; implicit-def: $sgpr78_sgpr79
                                        ; implicit-def: $sgpr88_sgpr89
	s_branch .LBB0_26
.LBB0_24:                               ;   in Loop: Header=BB0_26 Depth=2
	s_or_b64 exec, exec, s[34:35]
	s_andn2_b64 s[18:19], s[88:89], exec
	s_and_b64 s[88:89], s[94:95], exec
	s_or_b64 s[88:89], s[18:19], s[88:89]
	s_andn2_b64 s[18:19], s[78:79], exec
	s_and_b64 s[78:79], s[92:93], exec
	s_or_b64 s[78:79], s[18:19], s[78:79]
.LBB0_25:                               ;   in Loop: Header=BB0_26 Depth=2
	s_or_b64 exec, exec, s[90:91]
	s_and_b64 s[18:19], exec, s[78:79]
	s_or_b64 s[74:75], s[18:19], s[74:75]
	s_andn2_b64 s[18:19], s[76:77], exec
	s_and_b64 s[76:77], s[88:89], exec
	s_or_b64 s[76:77], s[18:19], s[76:77]
	s_andn2_b64 exec, exec, s[74:75]
	s_cbranch_execz .LBB0_31
.LBB0_26:                               ;   Parent Loop BB0_21 Depth=1
                                        ; =>  This Inner Loop Header: Depth=2
	s_sleep 1
	s_waitcnt vmcnt(0) lgkmcnt(0)
	flat_load_dwordx2 v[52:53], v[50:51] glc
	v_mov_b32_e32 v9, 1
	s_or_b64 s[88:89], s[88:89], exec
	s_or_b64 s[78:79], s[78:79], exec
                                        ; implicit-def: $vgpr3
	s_and_saveexec_b64 s[90:91], vcc
	s_cbranch_execz .LBB0_25
; %bb.27:                               ;   in Loop: Header=BB0_26 Depth=2
	s_add_i32 s28, s28, 1
	s_cmpk_lg_i32 s28, 0x2710
	s_cselect_b64 s[30:31], -1, 0
	s_cmpk_eq_i32 s28, 0x2710
	s_mov_b64 s[92:93], -1
	s_mov_b64 s[94:95], -1
                                        ; implicit-def: $vgpr3
	s_cbranch_scc1 .LBB0_29
; %bb.28:                               ;   in Loop: Header=BB0_26 Depth=2
	v_mov_b32_e32 v9, 1
	s_and_saveexec_b64 s[34:35], s[30:31]
	s_cbranch_execz .LBB0_24
	s_branch .LBB0_30
.LBB0_29:                               ;   in Loop: Header=BB0_26 Depth=2
	s_trap 2
	s_waitcnt vmcnt(0) lgkmcnt(0)
	ds_read_b64 v[3:4], v0
	s_andn2_b64 s[30:31], s[30:31], exec
	s_mov_b32 s28, 0
	s_mov_b64 s[94:95], 0
	s_waitcnt lgkmcnt(0)
	flat_load_dword v3, v[3:4] glc
	s_waitcnt vmcnt(0) lgkmcnt(0)
	buffer_wbinvl1_vol
	v_cmp_eq_u32_e64 s[18:19], 0, v3
	s_and_b64 s[18:19], s[18:19], exec
	s_or_b64 s[30:31], s[30:31], s[18:19]
	v_mov_b32_e32 v9, 1
	s_and_saveexec_b64 s[34:35], s[30:31]
	s_cbranch_execz .LBB0_24
.LBB0_30:                               ;   in Loop: Header=BB0_26 Depth=2
	s_waitcnt vmcnt(0) lgkmcnt(0)
	v_add_co_u32_e64 v4, s[18:19], 8, v52
	v_addc_co_u32_e64 v5, s[18:19], 0, v53, s[18:19]
	v_cmp_ge_u64_e64 s[18:19], v[4:5], v[17:18]
	v_mov_b32_e32 v9, 0
	s_or_b64 s[94:95], s[94:95], exec
	s_orn2_b64 s[92:93], s[18:19], exec
	s_branch .LBB0_24
.LBB0_31:                               ;   in Loop: Header=BB0_21 Depth=1
	s_or_b64 exec, exec, s[74:75]
	s_xor_b64 s[18:19], s[76:77], -1
	s_and_saveexec_b64 s[74:75], s[18:19]
	s_xor_b64 s[18:19], exec, s[74:75]
	s_cbranch_execz .LBB0_33
; %bb.32:                               ;   in Loop: Header=BB0_21 Depth=1
	v_mov_b32_e32 v9, 1
	s_waitcnt vmcnt(0) lgkmcnt(0)
	ds_write_b32 v0, v3
	s_trap 2
.LBB0_33:                               ;   in Loop: Header=BB0_21 Depth=1
	s_or_b64 exec, exec, s[18:19]
.LBB0_34:                               ;   in Loop: Header=BB0_21 Depth=1
	s_or_b64 exec, exec, s[72:73]
	s_and_saveexec_b64 s[18:19], s[8:9]
	s_cbranch_execz .LBB0_36
; %bb.35:                               ;   in Loop: Header=BB0_21 Depth=1
	buffer_load_dword v6, off, s[0:3], s32 offset:124 ; 4-byte Folded Reload
	v_and_b32_e32 v58, 0x7ffffff8, v15
	v_and_b32_e32 v3, 7, v15
	v_mad_u64_u32 v[3:4], s[72:73], v3, 24, v[13:14]
	v_cmp_eq_u64_e32 vcc, s[46:47], v[58:59]
	v_mov_b32_e32 v5, s23
	s_waitcnt vmcnt(0)
	v_cndmask_b32_e32 v5, v6, v5, vcc
	v_ashrrev_i32_e32 v6, 31, v5
	flat_store_dwordx2 v[3:4], v[5:6] offset:8
	s_waitcnt vmcnt(0)
.LBB0_36:                               ;   in Loop: Header=BB0_21 Depth=1
	s_or_b64 exec, exec, s[18:19]
	v_mov_b32_e32 v15, v17
	v_mov_b32_e32 v16, v18
.LBB0_37:                               ;   in Loop: Header=BB0_21 Depth=1
	s_or_b64 exec, exec, s[20:21]
	s_and_saveexec_b64 s[18:19], s[10:11]
	s_cbranch_execz .LBB0_56
; %bb.38:                               ;   in Loop: Header=BB0_21 Depth=1
	s_and_saveexec_b64 s[20:21], s[42:43]
	s_xor_b64 s[20:21], exec, s[20:21]
	s_cbranch_execz .LBB0_53
; %bb.39:                               ;   in Loop: Header=BB0_21 Depth=1
	s_and_saveexec_b64 s[72:73], s[12:13]
	s_cbranch_execz .LBB0_52
; %bb.40:                               ;   in Loop: Header=BB0_21 Depth=1
	s_mov_b64 s[76:77], exec
	v_mbcnt_lo_u32_b32 v3, s76, 0
	v_mbcnt_hi_u32_b32 v3, s77, v3
	v_cmp_eq_u32_e32 vcc, 0, v3
	s_waitcnt vmcnt(0) lgkmcnt(0)
	buffer_wbinvl1_vol
	s_and_saveexec_b64 s[74:75], vcc
	s_cbranch_execz .LBB0_42
; %bb.41:                               ;   in Loop: Header=BB0_21 Depth=1
	s_bcnt1_i32_b64 s28, s[76:77]
	v_mov_b32_e32 v58, s28
	ds_add_u64 v0, v[58:59]
	s_trap 2
.LBB0_42:                               ;   in Loop: Header=BB0_21 Depth=1
	s_or_b64 exec, exec, s[74:75]
	s_trap 2
	ds_read_b64 v[3:4], v0
	s_waitcnt lgkmcnt(0)
	buffer_load_dword v5, off, s[0:3], s32 offset:128 ; 4-byte Folded Reload
	s_waitcnt vmcnt(0)
	v_add_co_u32_e32 v40, vcc, v40, v5
	v_addc_co_u32_e32 v41, vcc, 0, v41, vcc
	v_cmp_lt_u64_e32 vcc, v[3:4], v[40:41]
	s_and_saveexec_b64 s[74:75], vcc
	s_cbranch_execz .LBB0_51
; %bb.43:                               ;   in Loop: Header=BB0_21 Depth=1
	s_mov_b32 s28, 0
	s_mov_b64 s[76:77], 0
                                        ; implicit-def: $sgpr78_sgpr79
                                        ; implicit-def: $sgpr88_sgpr89
	s_branch .LBB0_45
.LBB0_44:                               ;   in Loop: Header=BB0_45 Depth=2
	s_or_b64 exec, exec, s[92:93]
	s_and_b64 s[90:91], exec, s[94:95]
	s_or_b64 s[76:77], s[90:91], s[76:77]
	s_andn2_b64 s[78:79], s[78:79], exec
	s_and_b64 s[90:91], s[88:89], exec
	s_or_b64 s[78:79], s[78:79], s[90:91]
	s_andn2_b64 exec, exec, s[76:77]
	s_cbranch_execz .LBB0_49
.LBB0_45:                               ;   Parent Loop BB0_21 Depth=1
                                        ; =>  This Inner Loop Header: Depth=2
	s_add_i32 s28, s28, 1
	s_cmpk_lg_i32 s28, 0x2710
	s_cselect_b64 s[90:91], -1, 0
	s_and_b64 vcc, exec, s[90:91]
	s_cbranch_vccz .LBB0_47
; %bb.46:                               ;   in Loop: Header=BB0_45 Depth=2
	s_mov_b64 s[94:95], -1
	s_or_b64 s[88:89], s[88:89], exec
	s_and_saveexec_b64 s[92:93], s[90:91]
	s_cbranch_execz .LBB0_44
	s_branch .LBB0_48
.LBB0_47:                               ;   in Loop: Header=BB0_45 Depth=2
	s_trap 2
	ds_read_b64 v[3:4], v0
	s_andn2_b64 s[90:91], s[90:91], exec
	s_mov_b32 s28, 0
	s_waitcnt lgkmcnt(0)
	flat_load_dword v3, v[3:4] glc
	s_waitcnt vmcnt(0) lgkmcnt(0)
	buffer_wbinvl1_vol
	v_cmp_eq_u32_e32 vcc, 0, v3
	s_and_b64 s[92:93], vcc, exec
	s_or_b64 s[90:91], s[90:91], s[92:93]
	s_mov_b64 s[94:95], -1
	s_or_b64 s[88:89], s[88:89], exec
	s_and_saveexec_b64 s[92:93], s[90:91]
	s_cbranch_execz .LBB0_44
.LBB0_48:                               ;   in Loop: Header=BB0_45 Depth=2
	s_sleep 1
	s_trap 2
	ds_read_b64 v[3:4], v0
	s_waitcnt lgkmcnt(0)
	s_andn2_b64 s[88:89], s[88:89], exec
	v_cmp_ge_u64_e32 vcc, v[3:4], v[40:41]
	s_orn2_b64 s[94:95], vcc, exec
	s_branch .LBB0_44
.LBB0_49:                               ;   in Loop: Header=BB0_21 Depth=1
	s_or_b64 exec, exec, s[76:77]
	s_and_saveexec_b64 s[76:77], s[78:79]
	s_xor_b64 s[76:77], exec, s[76:77]
	s_cbranch_execz .LBB0_51
; %bb.50:                               ;   in Loop: Header=BB0_21 Depth=1
	v_mov_b32_e32 v3, 1
	ds_write_b32 v0, v3
	s_trap 2
.LBB0_51:                               ;   in Loop: Header=BB0_21 Depth=1
	s_or_b64 exec, exec, s[74:75]
	;;#ASMSTART
	s_wakeup
	;;#ASMEND
.LBB0_52:                               ;   in Loop: Header=BB0_21 Depth=1
	s_or_b64 exec, exec, s[72:73]
.LBB0_53:                               ;   in Loop: Header=BB0_21 Depth=1
	s_andn2_saveexec_b64 s[20:21], s[20:21]
	s_cbranch_execz .LBB0_55
; %bb.54:                               ;   in Loop: Header=BB0_21 Depth=1
	s_waitcnt vmcnt(0) lgkmcnt(0)
	buffer_wbinvl1_vol
	s_barrier
.LBB0_55:                               ;   in Loop: Header=BB0_21 Depth=1
	s_or_b64 exec, exec, s[20:21]
.LBB0_56:                               ;   in Loop: Header=BB0_21 Depth=1
	s_or_b64 exec, exec, s[18:19]
	buffer_load_dword v3, off, s[0:3], s32 offset:152 ; 4-byte Folded Reload
	buffer_load_dword v27, off, s[0:3], s32 offset:60 ; 4-byte Folded Reload
	;; [unrolled: 1-line block ×3, first 2 shown]
	v_and_b32_e32 v6, 7, v21
	v_add_u32_e32 v18, 1, v21
	s_waitcnt vmcnt(0)
	v_sub_u32_e32 v42, v2, v3
	v_cmp_lt_i32_e64 s[18:19], 0, v42
	s_and_saveexec_b64 s[20:21], s[18:19]
	s_cbranch_execz .LBB0_64
; %bb.57:                               ;   in Loop: Header=BB0_21 Depth=1
	buffer_load_dword v7, off, s[0:3], s32 offset:84 ; 4-byte Folded Reload
	buffer_load_dword v4, off, s[0:3], s32 offset:88 ; 4-byte Folded Reload
	s_waitcnt lgkmcnt(0)
	v_ashrrev_i32_e32 v3, 31, v0
	v_mul_lo_u32 v2, v6, s38
	s_waitcnt vmcnt(1)
	v_mad_u64_u32 v[28:29], s[72:73], v7, v0, v[32:33]
	s_waitcnt vmcnt(0)
	v_mul_lo_u32 v4, v4, v0
	v_mul_lo_u32 v5, v7, v3
	v_ashrrev_i32_e32 v3, 31, v2
	v_lshlrev_b64 v[2:3], 4, v[2:3]
	v_mul_lo_u32 v0, v7, v0
	v_add3_u32 v29, v4, v29, v5
	buffer_load_dword v4, off, s[0:3], s32 offset:236 ; 4-byte Folded Reload
	s_mov_b64 s[72:73], 0
	v_add_lshl_u32 v0, v32, v0, 3
	v_mov_b32_e32 v7, v42
	s_waitcnt vmcnt(0)
	v_add_co_u32_e32 v2, vcc, v4, v2
	buffer_load_dword v4, off, s[0:3], s32 offset:240 ; 4-byte Folded Reload
	s_waitcnt vmcnt(0)
	v_addc_co_u32_e32 v3, vcc, v4, v3, vcc
	buffer_load_dword v4, off, s[0:3], s32 offset:60 ; 4-byte Folded Reload
	buffer_load_dword v5, off, s[0:3], s32 offset:64 ; 4-byte Folded Reload
	s_waitcnt vmcnt(1)
	v_mov_b32_e32 v27, v4
	s_branch .LBB0_59
.LBB0_58:                               ;   in Loop: Header=BB0_59 Depth=2
	s_or_b64 exec, exec, s[74:75]
	v_add_co_u32_e32 v28, vcc, v28, v26
	v_sub_u32_e32 v7, v7, v26
	v_addc_co_u32_e32 v29, vcc, 0, v29, vcc
	s_waitcnt vmcnt(0)
	v_alignbit_b32 v17, v20, v10, v0
	v_alignbit_b32 v19, v19, v20, v0
	v_mov_b32_e32 v20, v18
	v_cmp_gt_i32_e32 vcc, 1, v7
	global_store_dwordx4 v[2:3], v[17:20], off
	s_or_b64 s[72:73], vcc, s[72:73]
	v_add_co_u32_e32 v2, vcc, v2, v11
	v_add_u32_e32 v27, v27, v1
	v_add_u32_e32 v0, v0, v30
	v_addc_co_u32_e32 v3, vcc, v3, v12, vcc
	s_andn2_b64 exec, exec, s[72:73]
	s_cbranch_execz .LBB0_63
.LBB0_59:                               ;   Parent Loop BB0_21 Depth=1
                                        ; =>  This Inner Loop Header: Depth=2
	v_and_b32_e32 v4, -4, v28
	s_waitcnt vmcnt(0)
	v_mov_b32_e32 v5, v29
	global_load_dword v10, v[4:5], off glc slc
	v_min_u32_e32 v17, 8, v7
	v_and_b32_e32 v19, 3, v28
	v_add_u32_e32 v58, v19, v17
	v_cmp_lt_u32_e32 vcc, 4, v58
	v_mov_b32_e32 v19, 0
	v_mov_b32_e32 v20, 0
	s_and_saveexec_b64 s[74:75], vcc
	s_cbranch_execz .LBB0_61
; %bb.60:                               ;   in Loop: Header=BB0_59 Depth=2
	global_load_dword v20, v[4:5], off offset:4 glc slc
.LBB0_61:                               ;   in Loop: Header=BB0_59 Depth=2
	s_or_b64 exec, exec, s[74:75]
	v_cmp_lt_u64_e32 vcc, 8, v[58:59]
	s_and_saveexec_b64 s[74:75], vcc
	s_cbranch_execz .LBB0_58
; %bb.62:                               ;   in Loop: Header=BB0_59 Depth=2
	global_load_dword v19, v[4:5], off offset:8 glc slc
	s_branch .LBB0_58
.LBB0_63:                               ;   in Loop: Header=BB0_21 Depth=1
	s_or_b64 exec, exec, s[72:73]
.LBB0_64:                               ;   in Loop: Header=BB0_21 Depth=1
	s_or_b64 exec, exec, s[20:21]
	v_and_b32_e32 v58, 0x7ffffff8, v21
	v_cmp_eq_u64_e32 vcc, s[46:47], v[58:59]
	v_cmp_gt_i32_e64 s[20:21], s38, v27
	s_and_b64 s[20:21], vcc, s[20:21]
	s_and_saveexec_b64 s[72:73], s[20:21]
	s_cbranch_execz .LBB0_67
; %bb.65:                               ;   in Loop: Header=BB0_21 Depth=1
	v_mul_lo_u32 v2, v6, s38
	v_ashrrev_i32_e32 v28, 31, v27
	v_lshlrev_b64 v[4:5], 4, v[27:28]
	v_mov_b32_e32 v17, v59
	v_ashrrev_i32_e32 v3, 31, v2
	v_lshlrev_b64 v[2:3], 4, v[2:3]
	s_mov_b64 s[74:75], 0
	s_waitcnt lgkmcnt(0)
	v_add_co_u32_e32 v0, vcc, v4, v2
	v_addc_co_u32_e32 v3, vcc, v5, v3, vcc
	buffer_load_dword v4, off, s[0:3], s32 offset:68 ; 4-byte Folded Reload
	buffer_load_dword v5, off, s[0:3], s32 offset:72 ; 4-byte Folded Reload
	s_waitcnt vmcnt(1)
	v_add_co_u32_e32 v2, vcc, v4, v0
	s_waitcnt vmcnt(0)
	v_addc_co_u32_e32 v3, vcc, v5, v3, vcc
.LBB0_66:                               ;   Parent Loop BB0_21 Depth=1
                                        ; =>  This Inner Loop Header: Depth=2
	v_mov_b32_e32 v19, v17
	v_mov_b32_e32 v20, v18
	v_add_u32_e32 v27, v27, v1
	global_store_dwordx4 v[2:3], v[17:20], off
	v_add_co_u32_e32 v2, vcc, v2, v11
	v_cmp_le_i32_e64 s[20:21], s38, v27
	s_or_b64 s[74:75], s[20:21], s[74:75]
	v_addc_co_u32_e32 v3, vcc, v3, v12, vcc
	s_andn2_b64 exec, exec, s[74:75]
	s_cbranch_execnz .LBB0_66
.LBB0_67:                               ;   in Loop: Header=BB0_21 Depth=1
	s_or_b64 exec, exec, s[72:73]
	buffer_store_dword v32, off, s[0:3], s32 offset:132 ; 4-byte Folded Spill
	s_nop 0
	buffer_store_dword v33, off, s[0:3], s32 offset:136 ; 4-byte Folded Spill
	buffer_load_dword v2, off, s[0:3], s32 offset:156 ; 4-byte Folded Reload
	buffer_load_dword v3, off, s[0:3], s32 offset:160 ; 4-byte Folded Reload
	v_add_co_u32_e64 v46, s[20:21], 1, v21
	v_addc_co_u32_e64 v47, s[20:21], 0, v22, s[20:21]
	s_waitcnt vmcnt(0)
	v_add_co_u32_e32 v7, vcc, v36, v2
	buffer_store_dword v36, off, s[0:3], s32 offset:140 ; 4-byte Folded Spill
	s_nop 0
	buffer_store_dword v37, off, s[0:3], s32 offset:144 ; 4-byte Folded Spill
	v_addc_co_u32_e32 v2, vcc, v37, v3, vcc
	s_andn2_b64 vcc, exec, s[44:45]
	buffer_store_dword v2, off, s[0:3], s32 offset:148 ; 4-byte Folded Spill
	s_cbranch_vccnz .LBB0_597
; %bb.68:                               ;   in Loop: Header=BB0_21 Depth=1
	s_waitcnt lgkmcnt(0)
	buffer_load_dword v0, off, s[0:3], s32 offset:220 ; 4-byte Folded Reload
	s_mov_b32 s55, 2
	buffer_store_dword v7, off, s[0:3], s32 offset:200 ; 4-byte Folded Spill
	s_waitcnt vmcnt(1)
	v_add_co_u32_e32 v3, vcc, v0, v7
	buffer_load_dword v0, off, s[0:3], s32 offset:224 ; 4-byte Folded Reload
	v_add_u16_e32 v7, 1, v21
	s_waitcnt vmcnt(0)
	v_addc_co_u32_e32 v4, vcc, v0, v2, vcc
	buffer_store_dword v3, off, s[0:3], s32 offset:108 ; 4-byte Folded Spill
	s_nop 0
	buffer_store_dword v4, off, s[0:3], s32 offset:112 ; 4-byte Folded Spill
	s_branch .LBB0_70
.LBB0_69:                               ;   in Loop: Header=BB0_70 Depth=2
	s_or_b64 exec, exec, s[72:73]
	v_add_co_u32_e32 v34, vcc, 1, v34
	v_addc_co_u32_e32 v35, vcc, 0, v35, vcc
	s_add_i32 s55, s55, 1
	v_add_co_u32_e32 v46, vcc, 1, v46
	v_addc_co_u32_e32 v47, vcc, 0, v47, vcc
	s_cmp_eq_u32 s55, s22
	v_add_u16_e32 v7, 1, v7
	s_cbranch_scc1 .LBB0_598
.LBB0_70:                               ;   Parent Loop BB0_21 Depth=1
                                        ; =>  This Loop Header: Depth=2
                                        ;       Child Loop BB0_75 Depth 3
                                        ;       Child Loop BB0_94 Depth 3
	;; [unrolled: 1-line block ×3, first 2 shown]
                                        ;         Child Loop BB0_123 Depth 4
                                        ;       Child Loop BB0_586 Depth 3
                                        ;       Child Loop BB0_111 Depth 3
	s_sub_i32 s28, s22, s55
	s_lshl_b64 s[20:21], s[28:29], 2
	s_waitcnt lgkmcnt(0)
	v_mov_b32_e32 v0, s21
	v_add_co_u32_e32 v2, vcc, s20, v44
	v_addc_co_u32_e32 v3, vcc, v45, v0, vcc
	flat_load_dword v0, v[2:3]
	s_and_saveexec_b64 s[72:73], s[6:7]
	s_cbranch_execz .LBB0_86
; %bb.71:                               ;   in Loop: Header=BB0_70 Depth=2
	v_add_co_u32_e32 v17, vcc, 1, v15
	v_addc_co_u32_e32 v18, vcc, 0, v16, vcc
	v_add_co_u32_e32 v2, vcc, 8, v52
	v_addc_co_u32_e32 v3, vcc, 0, v53, vcc
	v_cmp_lt_u64_e32 vcc, v[2:3], v[17:18]
	s_and_saveexec_b64 s[74:75], vcc
	s_cbranch_execz .LBB0_83
; %bb.72:                               ;   in Loop: Header=BB0_70 Depth=2
	s_mov_b32 s28, 0
	v_cmp_eq_u32_e32 vcc, 0, v9
	s_mov_b64 s[76:77], 0
                                        ; implicit-def: $sgpr78_sgpr79
                                        ; implicit-def: $sgpr88_sgpr89
                                        ; implicit-def: $sgpr90_sgpr91
	s_branch .LBB0_75
.LBB0_73:                               ;   in Loop: Header=BB0_75 Depth=3
	s_or_b64 exec, exec, s[36:37]
	s_andn2_b64 s[20:21], s[90:91], exec
	s_and_b64 s[90:91], s[30:31], exec
	s_or_b64 s[90:91], s[20:21], s[90:91]
	s_andn2_b64 s[20:21], s[88:89], exec
	s_and_b64 s[88:89], s[94:95], exec
	s_or_b64 s[88:89], s[20:21], s[88:89]
.LBB0_74:                               ;   in Loop: Header=BB0_75 Depth=3
	s_or_b64 exec, exec, s[92:93]
	s_and_b64 s[20:21], exec, s[88:89]
	s_or_b64 s[76:77], s[20:21], s[76:77]
	s_andn2_b64 s[20:21], s[78:79], exec
	s_and_b64 s[78:79], s[90:91], exec
	s_or_b64 s[78:79], s[20:21], s[78:79]
	s_andn2_b64 exec, exec, s[76:77]
	s_cbranch_execz .LBB0_80
.LBB0_75:                               ;   Parent Loop BB0_21 Depth=1
                                        ;     Parent Loop BB0_70 Depth=2
                                        ; =>    This Inner Loop Header: Depth=3
	s_sleep 1
	s_waitcnt vmcnt(0) lgkmcnt(0)
	flat_load_dwordx2 v[52:53], v[50:51] glc
	v_mov_b32_e32 v9, 1
	s_or_b64 s[90:91], s[90:91], exec
	s_or_b64 s[88:89], s[88:89], exec
                                        ; implicit-def: $vgpr2
	s_and_saveexec_b64 s[92:93], vcc
	s_cbranch_execz .LBB0_74
; %bb.76:                               ;   in Loop: Header=BB0_75 Depth=3
	s_add_i32 s28, s28, 1
	s_cmpk_lg_i32 s28, 0x2710
	s_cselect_b64 s[34:35], -1, 0
	s_cmpk_eq_i32 s28, 0x2710
	s_mov_b64 s[94:95], -1
	s_mov_b64 s[30:31], -1
                                        ; implicit-def: $vgpr2
	s_cbranch_scc1 .LBB0_78
; %bb.77:                               ;   in Loop: Header=BB0_75 Depth=3
	v_mov_b32_e32 v9, 1
	s_and_saveexec_b64 s[36:37], s[34:35]
	s_cbranch_execz .LBB0_73
	s_branch .LBB0_79
.LBB0_78:                               ;   in Loop: Header=BB0_75 Depth=3
	s_trap 2
	s_waitcnt vmcnt(0) lgkmcnt(0)
	ds_read_b64 v[2:3], v0
	s_andn2_b64 s[34:35], s[34:35], exec
	s_mov_b32 s28, 0
	s_mov_b64 s[30:31], 0
	s_waitcnt lgkmcnt(0)
	flat_load_dword v2, v[2:3] glc
	s_waitcnt vmcnt(0) lgkmcnt(0)
	buffer_wbinvl1_vol
	v_cmp_eq_u32_e64 s[20:21], 0, v2
	s_and_b64 s[20:21], s[20:21], exec
	s_or_b64 s[34:35], s[34:35], s[20:21]
	v_mov_b32_e32 v9, 1
	s_and_saveexec_b64 s[36:37], s[34:35]
	s_cbranch_execz .LBB0_73
.LBB0_79:                               ;   in Loop: Header=BB0_75 Depth=3
	s_waitcnt vmcnt(0) lgkmcnt(0)
	v_add_co_u32_e64 v3, s[20:21], 8, v52
	v_addc_co_u32_e64 v4, s[20:21], 0, v53, s[20:21]
	v_cmp_ge_u64_e64 s[20:21], v[3:4], v[17:18]
	v_mov_b32_e32 v9, 0
	s_or_b64 s[30:31], s[30:31], exec
	s_orn2_b64 s[94:95], s[20:21], exec
	s_branch .LBB0_73
.LBB0_80:                               ;   in Loop: Header=BB0_70 Depth=2
	s_or_b64 exec, exec, s[76:77]
	s_xor_b64 s[20:21], s[78:79], -1
	s_and_saveexec_b64 s[76:77], s[20:21]
	s_xor_b64 s[20:21], exec, s[76:77]
	s_cbranch_execz .LBB0_82
; %bb.81:                               ;   in Loop: Header=BB0_70 Depth=2
	v_mov_b32_e32 v9, 1
	s_waitcnt vmcnt(0) lgkmcnt(0)
	ds_write_b32 v0, v2
	s_trap 2
.LBB0_82:                               ;   in Loop: Header=BB0_70 Depth=2
	s_or_b64 exec, exec, s[20:21]
.LBB0_83:                               ;   in Loop: Header=BB0_70 Depth=2
	s_or_b64 exec, exec, s[74:75]
	s_and_saveexec_b64 s[20:21], s[8:9]
	s_cbranch_execz .LBB0_85
; %bb.84:                               ;   in Loop: Header=BB0_70 Depth=2
	buffer_load_dword v5, off, s[0:3], s32 offset:124 ; 4-byte Folded Reload
	v_and_b32_e32 v58, 0x7ffffff8, v15
	v_and_b32_e32 v2, 7, v15
	v_mad_u64_u32 v[2:3], s[74:75], v2, 24, v[13:14]
	v_cmp_eq_u64_e32 vcc, s[46:47], v[58:59]
	v_mov_b32_e32 v4, s23
	s_waitcnt vmcnt(0)
	v_cndmask_b32_e32 v4, v5, v4, vcc
	v_ashrrev_i32_e32 v5, 31, v4
	flat_store_dwordx2 v[2:3], v[4:5] offset:8
	s_waitcnt vmcnt(0)
.LBB0_85:                               ;   in Loop: Header=BB0_70 Depth=2
	s_or_b64 exec, exec, s[20:21]
	v_mov_b32_e32 v15, v17
	v_mov_b32_e32 v16, v18
.LBB0_86:                               ;   in Loop: Header=BB0_70 Depth=2
	s_or_b64 exec, exec, s[72:73]
	s_and_saveexec_b64 s[20:21], s[10:11]
	s_cbranch_execz .LBB0_105
; %bb.87:                               ;   in Loop: Header=BB0_70 Depth=2
	s_and_saveexec_b64 s[72:73], s[42:43]
	s_xor_b64 s[72:73], exec, s[72:73]
	s_cbranch_execz .LBB0_102
; %bb.88:                               ;   in Loop: Header=BB0_70 Depth=2
	s_and_saveexec_b64 s[74:75], s[12:13]
	s_cbranch_execz .LBB0_101
; %bb.89:                               ;   in Loop: Header=BB0_70 Depth=2
	s_mov_b64 s[78:79], exec
	v_mbcnt_lo_u32_b32 v2, s78, 0
	v_mbcnt_hi_u32_b32 v2, s79, v2
	v_cmp_eq_u32_e32 vcc, 0, v2
	s_waitcnt vmcnt(0) lgkmcnt(0)
	buffer_wbinvl1_vol
	s_and_saveexec_b64 s[76:77], vcc
	s_cbranch_execz .LBB0_91
; %bb.90:                               ;   in Loop: Header=BB0_70 Depth=2
	s_bcnt1_i32_b64 s28, s[78:79]
	v_mov_b32_e32 v58, s28
	ds_add_u64 v0, v[58:59]
	s_trap 2
.LBB0_91:                               ;   in Loop: Header=BB0_70 Depth=2
	s_or_b64 exec, exec, s[76:77]
	s_trap 2
	ds_read_b64 v[2:3], v0
	s_waitcnt lgkmcnt(0)
	buffer_load_dword v4, off, s[0:3], s32 offset:128 ; 4-byte Folded Reload
	s_waitcnt vmcnt(0)
	v_add_co_u32_e32 v40, vcc, v40, v4
	v_addc_co_u32_e32 v41, vcc, 0, v41, vcc
	v_cmp_lt_u64_e32 vcc, v[2:3], v[40:41]
	s_and_saveexec_b64 s[76:77], vcc
	s_cbranch_execz .LBB0_100
; %bb.92:                               ;   in Loop: Header=BB0_70 Depth=2
	s_mov_b32 s28, 0
	s_mov_b64 s[78:79], 0
                                        ; implicit-def: $sgpr88_sgpr89
                                        ; implicit-def: $sgpr90_sgpr91
	s_branch .LBB0_94
.LBB0_93:                               ;   in Loop: Header=BB0_94 Depth=3
	s_or_b64 exec, exec, s[94:95]
	s_and_b64 s[92:93], exec, vcc
	s_or_b64 s[78:79], s[92:93], s[78:79]
	s_andn2_b64 s[88:89], s[88:89], exec
	s_and_b64 s[92:93], s[90:91], exec
	s_or_b64 s[88:89], s[88:89], s[92:93]
	s_andn2_b64 exec, exec, s[78:79]
	s_cbranch_execz .LBB0_98
.LBB0_94:                               ;   Parent Loop BB0_21 Depth=1
                                        ;     Parent Loop BB0_70 Depth=2
                                        ; =>    This Inner Loop Header: Depth=3
	s_add_i32 s28, s28, 1
	s_cmpk_lg_i32 s28, 0x2710
	s_cselect_b64 s[92:93], -1, 0
	s_and_b64 vcc, exec, s[92:93]
	s_cbranch_vccz .LBB0_96
; %bb.95:                               ;   in Loop: Header=BB0_94 Depth=3
	s_mov_b64 vcc, -1
	s_or_b64 s[90:91], s[90:91], exec
	s_and_saveexec_b64 s[94:95], s[92:93]
	s_cbranch_execz .LBB0_93
	s_branch .LBB0_97
.LBB0_96:                               ;   in Loop: Header=BB0_94 Depth=3
	s_trap 2
	ds_read_b64 v[2:3], v0
	s_andn2_b64 s[92:93], s[92:93], exec
	s_mov_b32 s28, 0
	s_waitcnt lgkmcnt(0)
	flat_load_dword v2, v[2:3] glc
	s_waitcnt vmcnt(0) lgkmcnt(0)
	buffer_wbinvl1_vol
	v_cmp_eq_u32_e32 vcc, 0, v2
	s_and_b64 s[94:95], vcc, exec
	s_or_b64 s[92:93], s[92:93], s[94:95]
	s_mov_b64 vcc, -1
	s_or_b64 s[90:91], s[90:91], exec
	s_and_saveexec_b64 s[94:95], s[92:93]
	s_cbranch_execz .LBB0_93
.LBB0_97:                               ;   in Loop: Header=BB0_94 Depth=3
	s_sleep 1
	s_trap 2
	ds_read_b64 v[2:3], v0
	s_waitcnt lgkmcnt(0)
	s_andn2_b64 s[90:91], s[90:91], exec
	v_cmp_ge_u64_e32 vcc, v[2:3], v[40:41]
	s_orn2_b64 vcc, vcc, exec
	s_branch .LBB0_93
.LBB0_98:                               ;   in Loop: Header=BB0_70 Depth=2
	s_or_b64 exec, exec, s[78:79]
	s_and_saveexec_b64 s[78:79], s[88:89]
	s_xor_b64 s[78:79], exec, s[78:79]
	s_cbranch_execz .LBB0_100
; %bb.99:                               ;   in Loop: Header=BB0_70 Depth=2
	v_mov_b32_e32 v2, 1
	ds_write_b32 v0, v2
	s_trap 2
.LBB0_100:                              ;   in Loop: Header=BB0_70 Depth=2
	s_or_b64 exec, exec, s[76:77]
	;;#ASMSTART
	s_wakeup
	;;#ASMEND
.LBB0_101:                              ;   in Loop: Header=BB0_70 Depth=2
	s_or_b64 exec, exec, s[74:75]
.LBB0_102:                              ;   in Loop: Header=BB0_70 Depth=2
	s_andn2_saveexec_b64 s[72:73], s[72:73]
	s_cbranch_execz .LBB0_104
; %bb.103:                              ;   in Loop: Header=BB0_70 Depth=2
	s_waitcnt vmcnt(0) lgkmcnt(0)
	buffer_wbinvl1_vol
	s_barrier
.LBB0_104:                              ;   in Loop: Header=BB0_70 Depth=2
	s_or_b64 exec, exec, s[72:73]
.LBB0_105:                              ;   in Loop: Header=BB0_70 Depth=2
	s_or_b64 exec, exec, s[20:21]
	buffer_load_dword v4, off, s[0:3], s32 offset:60 ; 4-byte Folded Reload
	buffer_load_dword v5, off, s[0:3], s32 offset:64 ; 4-byte Folded Reload
	v_add_u32_e32 v18, 1, v46
	s_and_saveexec_b64 s[72:73], s[18:19]
	s_cbranch_execnz .LBB0_112
; %bb.106:                              ;   in Loop: Header=BB0_70 Depth=2
	s_or_b64 exec, exec, s[72:73]
	s_and_saveexec_b64 s[20:21], s[10:11]
	s_cbranch_execnz .LBB0_579
.LBB0_107:                              ;   in Loop: Header=BB0_70 Depth=2
	s_or_b64 exec, exec, s[20:21]
	s_and_saveexec_b64 s[20:21], s[16:17]
	s_cbranch_execz .LBB0_109
.LBB0_108:                              ;   in Loop: Header=BB0_70 Depth=2
	buffer_load_dword v2, off, s[0:3], s32 offset:92 ; 4-byte Folded Reload
	buffer_load_dword v3, off, s[0:3], s32 offset:96 ; 4-byte Folded Reload
	s_waitcnt vmcnt(0)
	v_add_co_u32_e32 v60, vcc, 1, v60
	v_addc_co_u32_e32 v61, vcc, 0, v61, vcc
	flat_store_dwordx2 v[2:3], v[60:61]
.LBB0_109:                              ;   in Loop: Header=BB0_70 Depth=2
	s_or_b64 exec, exec, s[20:21]
	v_and_b32_e32 v58, 0x7ffffff8, v46
	v_cmp_eq_u64_e32 vcc, s[46:47], v[58:59]
	s_waitcnt vmcnt(0)
	v_cmp_gt_i32_e64 s[20:21], s38, v4
	s_and_b64 s[20:21], vcc, s[20:21]
	s_and_saveexec_b64 s[72:73], s[20:21]
	s_cbranch_execz .LBB0_69
; %bb.110:                              ;   in Loop: Header=BB0_70 Depth=2
	s_waitcnt lgkmcnt(0)
	v_and_b32_e32 v0, 7, v7
	v_mul_lo_u32 v2, s38, v0
	v_ashrrev_i32_e32 v5, 31, v4
	v_lshlrev_b64 v[5:6], 4, v[4:5]
	v_mov_b32_e32 v17, v59
	v_ashrrev_i32_e32 v3, 31, v2
	v_lshlrev_b64 v[2:3], 4, v[2:3]
	s_mov_b64 s[74:75], 0
	v_add_co_u32_e32 v0, vcc, v5, v2
	v_addc_co_u32_e32 v3, vcc, v6, v3, vcc
	buffer_load_dword v5, off, s[0:3], s32 offset:68 ; 4-byte Folded Reload
	buffer_load_dword v6, off, s[0:3], s32 offset:72 ; 4-byte Folded Reload
	s_waitcnt vmcnt(1)
	v_add_co_u32_e32 v2, vcc, v5, v0
	s_waitcnt vmcnt(0)
	v_addc_co_u32_e32 v3, vcc, v6, v3, vcc
.LBB0_111:                              ;   Parent Loop BB0_21 Depth=1
                                        ;     Parent Loop BB0_70 Depth=2
                                        ; =>    This Inner Loop Header: Depth=3
	v_mov_b32_e32 v19, v17
	v_mov_b32_e32 v20, v18
	v_add_u32_e32 v4, v4, v1
	global_store_dwordx4 v[2:3], v[17:20], off
	v_add_co_u32_e32 v2, vcc, v2, v11
	v_cmp_le_i32_e64 s[20:21], s38, v4
	s_or_b64 s[74:75], s[20:21], s[74:75]
	v_addc_co_u32_e32 v3, vcc, v3, v12, vcc
	s_andn2_b64 exec, exec, s[74:75]
	s_cbranch_execnz .LBB0_111
	s_branch .LBB0_69
.LBB0_112:                              ;   in Loop: Header=BB0_70 Depth=2
	buffer_store_dword v60, off, s[0:3], s32 offset:76 ; 4-byte Folded Spill
	s_nop 0
	buffer_store_dword v61, off, s[0:3], s32 offset:80 ; 4-byte Folded Spill
	buffer_load_dword v3, off, s[0:3], s32 offset:84 ; 4-byte Folded Reload
	buffer_load_dword v4, off, s[0:3], s32 offset:108 ; 4-byte Folded Reload
	;; [unrolled: 1-line block ×3, first 2 shown]
	s_waitcnt vmcnt(0) lgkmcnt(0)
	v_ashrrev_i32_e32 v2, 31, v0
	v_add_u32_e32 v44, 1, v34
	s_mov_b64 s[74:75], 0
	v_mov_b32_e32 v10, v42
	v_mad_u64_u32 v[60:61], s[20:21], v3, v0, v[4:5]
	buffer_load_dword v4, off, s[0:3], s32 offset:88 ; 4-byte Folded Reload
	buffer_load_dword v5, off, s[0:3], s32 offset:100 ; 4-byte Folded Reload
	;; [unrolled: 1-line block ×3, first 2 shown]
	v_mul_lo_u32 v3, v3, v2
	v_and_b32_e32 v2, 7, v34
	v_mul_lo_u32 v2, v2, s38
	s_waitcnt vmcnt(2)
	v_mul_lo_u32 v0, v4, v0
	v_add3_u32 v61, v0, v61, v3
	v_and_b32_e32 v0, 7, v46
	v_mul_lo_u32 v4, v0, s38
	v_ashrrev_i32_e32 v3, 31, v2
	v_lshlrev_b64 v[2:3], 4, v[2:3]
	s_waitcnt vmcnt(1)
	v_add_co_u32_e32 v32, vcc, v5, v2
	v_ashrrev_i32_e32 v5, 31, v4
	s_waitcnt vmcnt(0)
	v_addc_co_u32_e32 v33, vcc, v6, v3, vcc
	v_lshlrev_b64 v[2:3], 4, v[4:5]
	buffer_load_dword v4, off, s[0:3], s32 offset:68 ; 4-byte Folded Reload
	buffer_load_dword v5, off, s[0:3], s32 offset:72 ; 4-byte Folded Reload
	s_waitcnt vmcnt(1)
	v_add_co_u32_e32 v45, vcc, v4, v2
	s_waitcnt vmcnt(0)
	v_addc_co_u32_e32 v62, vcc, v5, v3, vcc
	buffer_load_dword v4, off, s[0:3], s32 offset:60 ; 4-byte Folded Reload
	buffer_load_dword v5, off, s[0:3], s32 offset:64 ; 4-byte Folded Reload
	s_branch .LBB0_115
.LBB0_113:                              ;   in Loop: Header=BB0_115 Depth=3
	s_or_b64 exec, exec, s[76:77]
.LBB0_114:                              ;   in Loop: Header=BB0_115 Depth=3
	s_or_b64 exec, exec, s[20:21]
	v_add_co_u32_e32 v60, vcc, v60, v26
	v_lshlrev_b32_e32 v0, 8, v57
	v_lshlrev_b32_e32 v2, 16, v23
	v_addc_co_u32_e32 v61, vcc, 0, v61, vcc
	v_or3_b32 v0, v0, v56, v2
	v_lshlrev_b32_e32 v2, 8, v19
	v_lshlrev_b32_e32 v6, 24, v3
	;; [unrolled: 1-line block ×3, first 2 shown]
	v_or3_b32 v19, v2, v22, v3
	v_add_co_u32_e32 v2, vcc, v45, v29
	v_addc_co_u32_e32 v3, vcc, v62, v30, vcc
	v_sub_u32_e32 v10, v10, v26
	v_lshlrev_b32_e32 v5, 24, v37
	v_cmp_gt_i32_e32 vcc, 1, v10
	v_or3_b32 v17, v0, v5, 0
	v_or3_b32 v19, v19, v6, 0
	v_mov_b32_e32 v20, v18
	s_or_b64 s[74:75], vcc, s[74:75]
	v_add_u32_e32 v4, v4, v1
	global_store_dwordx4 v[2:3], v[17:20], off
	s_andn2_b64 exec, exec, s[74:75]
	s_cbranch_execz .LBB0_578
.LBB0_115:                              ;   Parent Loop BB0_21 Depth=1
                                        ;     Parent Loop BB0_70 Depth=2
                                        ; =>    This Loop Header: Depth=3
                                        ;         Child Loop BB0_123 Depth 4
	v_and_b32_e32 v2, -4, v60
	v_mov_b32_e32 v3, v61
	global_load_dword v0, v[2:3], off glc slc
	s_waitcnt vmcnt(1)
	v_min_u32_e32 v5, 8, v10
	v_and_b32_e32 v6, 3, v60
	v_add_u32_e32 v58, v6, v5
	v_cmp_lt_u32_e32 vcc, 4, v58
	v_mov_b32_e32 v24, 0
	v_mov_b32_e32 v36, 0
	s_and_saveexec_b64 s[20:21], vcc
	s_cbranch_execz .LBB0_117
; %bb.116:                              ;   in Loop: Header=BB0_115 Depth=3
	global_load_dword v36, v[2:3], off offset:4 glc slc
.LBB0_117:                              ;   in Loop: Header=BB0_115 Depth=3
	s_or_b64 exec, exec, s[20:21]
	v_cmp_lt_u64_e32 vcc, 8, v[58:59]
	s_and_saveexec_b64 s[20:21], vcc
	s_cbranch_execz .LBB0_119
; %bb.118:                              ;   in Loop: Header=BB0_115 Depth=3
	global_load_dword v24, v[2:3], off offset:8 glc slc
.LBB0_119:                              ;   in Loop: Header=BB0_115 Depth=3
	s_or_b64 exec, exec, s[20:21]
	v_mov_b32_e32 v5, v59
	v_lshlrev_b64 v[29:30], 4, v[4:5]
	v_add_co_u32_e32 v27, vcc, v32, v29
	v_addc_co_u32_e32 v28, vcc, v33, v30, vcc
	global_load_dwordx4 v[19:22], v[27:28], off glc slc
	v_cmp_eq_u32_e32 vcc, 0, v9
	v_mov_b32_e32 v9, 1
	s_and_saveexec_b64 s[76:77], vcc
	s_cbranch_execz .LBB0_131
; %bb.120:                              ;   in Loop: Header=BB0_115 Depth=3
	s_waitcnt vmcnt(0)
	v_cmp_ne_u32_e32 vcc, v44, v20
	v_cmp_ne_u32_e64 s[20:21], v44, v22
	s_or_b64 s[20:21], vcc, s[20:21]
	v_mov_b32_e32 v9, 0
	s_and_saveexec_b64 s[78:79], s[20:21]
	s_cbranch_execz .LBB0_130
; %bb.121:                              ;   in Loop: Header=BB0_115 Depth=3
	s_mov_b32 s28, 1
	s_mov_b64 s[90:91], 0
                                        ; implicit-def: $sgpr88_sgpr89
                                        ; implicit-def: $sgpr92_sgpr93
	s_branch .LBB0_123
.LBB0_122:                              ;   in Loop: Header=BB0_123 Depth=4
	s_or_b64 exec, exec, s[30:31]
	s_and_b64 s[20:21], exec, s[20:21]
	s_or_b64 s[90:91], s[20:21], s[90:91]
	s_andn2_b64 s[20:21], s[88:89], exec
	s_and_b64 s[88:89], s[92:93], exec
	s_or_b64 s[88:89], s[20:21], s[88:89]
	s_andn2_b64 exec, exec, s[90:91]
	s_cbranch_execz .LBB0_127
.LBB0_123:                              ;   Parent Loop BB0_21 Depth=1
                                        ;     Parent Loop BB0_70 Depth=2
                                        ;       Parent Loop BB0_115 Depth=3
                                        ; =>      This Inner Loop Header: Depth=4
	global_load_dwordx4 v[19:22], v[27:28], off glc slc
	s_add_i32 s28, s28, 1
	s_mov_b64 s[20:21], -1
	s_cmpk_lg_i32 s28, 0x2710
	s_mov_b64 s[94:95], -1
                                        ; implicit-def: $vgpr2
	s_cbranch_scc0 .LBB0_125
; %bb.124:                              ;   in Loop: Header=BB0_123 Depth=4
	s_or_b64 s[92:93], s[92:93], exec
	s_and_saveexec_b64 s[30:31], s[94:95]
	s_cbranch_execz .LBB0_122
	s_branch .LBB0_126
.LBB0_125:                              ;   in Loop: Header=BB0_123 Depth=4
	s_trap 2
	ds_read_b64 v[2:3], v0
	s_mov_b32 s28, 0
	s_waitcnt vmcnt(0) lgkmcnt(0)
	flat_load_dword v2, v[2:3] glc
	s_waitcnt vmcnt(0) lgkmcnt(0)
	buffer_wbinvl1_vol
	v_cmp_eq_u32_e32 vcc, 0, v2
	s_orn2_b64 s[94:95], vcc, exec
	s_or_b64 s[92:93], s[92:93], exec
	s_and_saveexec_b64 s[30:31], s[94:95]
	s_cbranch_execz .LBB0_122
.LBB0_126:                              ;   in Loop: Header=BB0_123 Depth=4
	s_waitcnt vmcnt(0)
	v_cmp_eq_u32_e32 vcc, v44, v20
	v_cmp_eq_u32_e64 s[20:21], v44, v22
	s_and_b64 s[20:21], vcc, s[20:21]
	s_andn2_b64 s[92:93], s[92:93], exec
	s_orn2_b64 s[20:21], s[20:21], exec
	s_branch .LBB0_122
.LBB0_127:                              ;   in Loop: Header=BB0_115 Depth=3
	s_or_b64 exec, exec, s[90:91]
	v_mov_b32_e32 v9, 0
	s_and_saveexec_b64 s[20:21], s[88:89]
	s_xor_b64 s[20:21], exec, s[20:21]
	s_cbranch_execz .LBB0_129
; %bb.128:                              ;   in Loop: Header=BB0_115 Depth=3
	v_mov_b32_e32 v9, 1
	ds_write_b32 v0, v2
	s_trap 2
.LBB0_129:                              ;   in Loop: Header=BB0_115 Depth=3
	s_or_b64 exec, exec, s[20:21]
.LBB0_130:                              ;   in Loop: Header=BB0_115 Depth=3
	s_or_b64 exec, exec, s[78:79]
.LBB0_131:                              ;   in Loop: Header=BB0_115 Depth=3
	s_or_b64 exec, exec, s[76:77]
	v_lshlrev_b32_e32 v38, 3, v60
	s_waitcnt vmcnt(1)
	v_alignbit_b32 v58, v36, v0, v38
	s_waitcnt vmcnt(0)
	v_cmp_ne_u16_sdwa s[20:21], v19, v59 src0_sel:BYTE_0 src1_sel:DWORD
                                        ; implicit-def: $vgpr5
	s_and_saveexec_b64 s[76:77], s[14:15]
	s_xor_b64 s[76:77], exec, s[76:77]
	s_cbranch_execz .LBB0_149
; %bb.132:                              ;   in Loop: Header=BB0_115 Depth=3
	v_mov_b32_e32 v2, 0
	v_mov_b32_e32 v0, 0
	s_and_saveexec_b64 s[78:79], s[20:21]
	s_cbranch_execz .LBB0_140
; %bb.133:                              ;   in Loop: Header=BB0_115 Depth=3
	v_cmp_ne_u16_sdwa s[90:91], sext(v19), s48 src0_sel:BYTE_0 src1_sel:DWORD
	v_bfrev_b32_e32 v0, 1
	s_and_saveexec_b64 s[88:89], s[90:91]
	s_cbranch_execz .LBB0_139
; %bb.134:                              ;   in Loop: Header=BB0_115 Depth=3
	v_and_b32_e32 v0, 0x7c, v19
	v_and_b32_e32 v3, 3, v19
	v_cmp_ne_u32_e32 vcc, s49, v0
                                        ; implicit-def: $vgpr0
	s_and_saveexec_b64 s[90:91], vcc
	s_xor_b64 s[90:91], exec, s[90:91]
	s_cbranch_execz .LBB0_136
; %bb.135:                              ;   in Loop: Header=BB0_115 Depth=3
	v_ffbh_u32_e32 v5, v3
	v_min_u32_e32 v17, 32, v5
	v_subrev_u32_e32 v5, 29, v17
	v_lshlrev_b64 v[5:6], v5, v[19:20]
	v_bfe_u32 v0, v19, 2, 5
	v_and_b32_e32 v5, 3, v5
	v_cmp_eq_u32_e32 vcc, 0, v0
	v_sub_u32_e32 v6, 30, v17
	v_cndmask_b32_e32 v3, v3, v5, vcc
	v_lshlrev_b32_e32 v5, 24, v19
	v_cndmask_b32_e32 v0, v0, v6, vcc
	v_and_b32_e32 v5, 0x80000000, v5
	v_lshl_add_u32 v0, v0, 23, v5
	v_lshl_or_b32 v0, v3, 21, v0
	v_add_u32_e32 v0, 0x38000000, v0
                                        ; implicit-def: $vgpr3
.LBB0_136:                              ;   in Loop: Header=BB0_115 Depth=3
	s_andn2_saveexec_b64 s[90:91], s[90:91]
; %bb.137:                              ;   in Loop: Header=BB0_115 Depth=3
	v_cmp_gt_i16_sdwa vcc, sext(v19), v43 src0_sel:BYTE_0 src1_sel:DWORD
	v_cndmask_b32_e32 v0, v8, v54, vcc
	v_cmp_eq_u32_e32 vcc, 0, v3
	v_cndmask_b32_e32 v0, v55, v0, vcc
; %bb.138:                              ;   in Loop: Header=BB0_115 Depth=3
	s_or_b64 exec, exec, s[90:91]
.LBB0_139:                              ;   in Loop: Header=BB0_115 Depth=3
	s_or_b64 exec, exec, s[88:89]
.LBB0_140:                              ;   in Loop: Header=BB0_115 Depth=3
	s_or_b64 exec, exec, s[78:79]
	v_cmp_ne_u16_sdwa s[88:89], sext(v58), v59 src0_sel:BYTE_0 src1_sel:DWORD
	s_and_saveexec_b64 s[78:79], s[88:89]
	s_cbranch_execz .LBB0_148
; %bb.141:                              ;   in Loop: Header=BB0_115 Depth=3
	v_cmp_ne_u16_sdwa s[90:91], sext(v58), s48 src0_sel:BYTE_0 src1_sel:DWORD
	v_bfrev_b32_e32 v2, 1
	s_and_saveexec_b64 s[88:89], s[90:91]
	s_cbranch_execz .LBB0_147
; %bb.142:                              ;   in Loop: Header=BB0_115 Depth=3
	v_and_b32_e32 v2, 0x7c, v58
	v_and_b32_e32 v3, 3, v58
	v_cmp_ne_u32_e32 vcc, s49, v2
                                        ; implicit-def: $vgpr2
	s_and_saveexec_b64 s[90:91], vcc
	s_xor_b64 s[90:91], exec, s[90:91]
	s_cbranch_execz .LBB0_144
; %bb.143:                              ;   in Loop: Header=BB0_115 Depth=3
	v_ffbh_u32_e32 v5, v3
	v_min_u32_e32 v17, 32, v5
	v_subrev_u32_e32 v5, 29, v17
	v_lshlrev_b64 v[5:6], v5, v[58:59]
	v_bfe_u32 v2, v58, 2, 5
	v_and_b32_e32 v5, 3, v5
	v_cmp_eq_u32_e32 vcc, 0, v2
	v_sub_u32_e32 v6, 30, v17
	v_cndmask_b32_e32 v3, v3, v5, vcc
	v_lshlrev_b32_e32 v5, 24, v58
	v_cndmask_b32_e32 v2, v2, v6, vcc
	v_and_b32_e32 v5, 0x80000000, v5
	v_lshl_add_u32 v2, v2, 23, v5
	v_lshl_or_b32 v2, v3, 21, v2
	v_add_u32_e32 v2, 0x38000000, v2
                                        ; implicit-def: $vgpr3
.LBB0_144:                              ;   in Loop: Header=BB0_115 Depth=3
	s_andn2_saveexec_b64 s[90:91], s[90:91]
; %bb.145:                              ;   in Loop: Header=BB0_115 Depth=3
	v_cmp_gt_i16_sdwa vcc, sext(v58), v43 src0_sel:BYTE_0 src1_sel:DWORD
	v_cndmask_b32_e32 v2, v8, v54, vcc
	v_cmp_eq_u32_e32 vcc, 0, v3
	v_cndmask_b32_e32 v2, v55, v2, vcc
; %bb.146:                              ;   in Loop: Header=BB0_115 Depth=3
	s_or_b64 exec, exec, s[90:91]
.LBB0_147:                              ;   in Loop: Header=BB0_115 Depth=3
	s_or_b64 exec, exec, s[88:89]
.LBB0_148:                              ;   in Loop: Header=BB0_115 Depth=3
	s_or_b64 exec, exec, s[78:79]
	v_max_f32_e32 v2, v2, v2
	v_max_f32_e32 v0, v0, v0
	;; [unrolled: 1-line block ×3, first 2 shown]
.LBB0_149:                              ;   in Loop: Header=BB0_115 Depth=3
	s_andn2_saveexec_b64 s[76:77], s[76:77]
	s_cbranch_execz .LBB0_167
; %bb.150:                              ;   in Loop: Header=BB0_115 Depth=3
	v_mov_b32_e32 v2, 0
	v_mov_b32_e32 v0, 0
	s_and_saveexec_b64 s[78:79], s[20:21]
	s_cbranch_execz .LBB0_158
; %bb.151:                              ;   in Loop: Header=BB0_115 Depth=3
	v_cmp_ne_u16_sdwa s[88:89], sext(v19), s48 src0_sel:BYTE_0 src1_sel:DWORD
	v_bfrev_b32_e32 v0, 1
	s_and_saveexec_b64 s[20:21], s[88:89]
	s_cbranch_execz .LBB0_157
; %bb.152:                              ;   in Loop: Header=BB0_115 Depth=3
	v_and_b32_e32 v0, 0x7c, v19
	v_and_b32_e32 v3, 3, v19
	v_cmp_ne_u32_e32 vcc, s49, v0
                                        ; implicit-def: $vgpr0
	s_and_saveexec_b64 s[88:89], vcc
	s_xor_b64 s[88:89], exec, s[88:89]
	s_cbranch_execz .LBB0_154
; %bb.153:                              ;   in Loop: Header=BB0_115 Depth=3
	v_ffbh_u32_e32 v5, v3
	v_min_u32_e32 v17, 32, v5
	v_subrev_u32_e32 v5, 29, v17
	v_lshlrev_b64 v[5:6], v5, v[19:20]
	v_bfe_u32 v0, v19, 2, 5
	v_and_b32_e32 v5, 3, v5
	v_cmp_eq_u32_e32 vcc, 0, v0
	v_sub_u32_e32 v6, 30, v17
	v_cndmask_b32_e32 v3, v3, v5, vcc
	v_lshlrev_b32_e32 v5, 24, v19
	v_cndmask_b32_e32 v0, v0, v6, vcc
	v_and_b32_e32 v5, 0x80000000, v5
	v_lshl_add_u32 v0, v0, 23, v5
	v_lshl_or_b32 v0, v3, 21, v0
	v_add_u32_e32 v0, 0x38000000, v0
                                        ; implicit-def: $vgpr3
.LBB0_154:                              ;   in Loop: Header=BB0_115 Depth=3
	s_andn2_saveexec_b64 s[88:89], s[88:89]
; %bb.155:                              ;   in Loop: Header=BB0_115 Depth=3
	v_cmp_gt_i16_sdwa vcc, sext(v19), v43 src0_sel:BYTE_0 src1_sel:DWORD
	v_cndmask_b32_e32 v0, v8, v54, vcc
	v_cmp_eq_u32_e32 vcc, 0, v3
	v_cndmask_b32_e32 v0, v55, v0, vcc
; %bb.156:                              ;   in Loop: Header=BB0_115 Depth=3
	s_or_b64 exec, exec, s[88:89]
.LBB0_157:                              ;   in Loop: Header=BB0_115 Depth=3
	s_or_b64 exec, exec, s[20:21]
.LBB0_158:                              ;   in Loop: Header=BB0_115 Depth=3
	s_or_b64 exec, exec, s[78:79]
	v_cmp_ne_u16_sdwa s[78:79], sext(v58), v59 src0_sel:BYTE_0 src1_sel:DWORD
	s_and_saveexec_b64 s[20:21], s[78:79]
	s_cbranch_execz .LBB0_166
; %bb.159:                              ;   in Loop: Header=BB0_115 Depth=3
	v_cmp_ne_u16_sdwa s[88:89], sext(v58), s48 src0_sel:BYTE_0 src1_sel:DWORD
	v_bfrev_b32_e32 v2, 1
	s_and_saveexec_b64 s[78:79], s[88:89]
	s_cbranch_execz .LBB0_165
; %bb.160:                              ;   in Loop: Header=BB0_115 Depth=3
	v_and_b32_e32 v2, 0x7c, v58
	v_and_b32_e32 v3, 3, v58
	v_cmp_ne_u32_e32 vcc, s49, v2
                                        ; implicit-def: $vgpr2
	s_and_saveexec_b64 s[88:89], vcc
	s_xor_b64 s[88:89], exec, s[88:89]
	s_cbranch_execz .LBB0_162
; %bb.161:                              ;   in Loop: Header=BB0_115 Depth=3
	v_ffbh_u32_e32 v5, v3
	v_min_u32_e32 v17, 32, v5
	v_subrev_u32_e32 v5, 29, v17
	v_lshlrev_b64 v[5:6], v5, v[58:59]
	v_bfe_u32 v2, v58, 2, 5
	v_and_b32_e32 v5, 3, v5
	v_cmp_eq_u32_e32 vcc, 0, v2
	v_sub_u32_e32 v6, 30, v17
	v_cndmask_b32_e32 v3, v3, v5, vcc
	v_lshlrev_b32_e32 v5, 24, v58
	v_cndmask_b32_e32 v2, v2, v6, vcc
	v_and_b32_e32 v5, 0x80000000, v5
	v_lshl_add_u32 v2, v2, 23, v5
	v_lshl_or_b32 v2, v3, 21, v2
	v_add_u32_e32 v2, 0x38000000, v2
                                        ; implicit-def: $vgpr3
.LBB0_162:                              ;   in Loop: Header=BB0_115 Depth=3
	s_andn2_saveexec_b64 s[88:89], s[88:89]
; %bb.163:                              ;   in Loop: Header=BB0_115 Depth=3
	v_cmp_gt_i16_sdwa vcc, sext(v58), v43 src0_sel:BYTE_0 src1_sel:DWORD
	v_cndmask_b32_e32 v2, v8, v54, vcc
	v_cmp_eq_u32_e32 vcc, 0, v3
	v_cndmask_b32_e32 v2, v55, v2, vcc
; %bb.164:                              ;   in Loop: Header=BB0_115 Depth=3
	s_or_b64 exec, exec, s[88:89]
.LBB0_165:                              ;   in Loop: Header=BB0_115 Depth=3
	s_or_b64 exec, exec, s[78:79]
.LBB0_166:                              ;   in Loop: Header=BB0_115 Depth=3
	s_or_b64 exec, exec, s[20:21]
	v_max_f32_e32 v2, v2, v2
	v_max_f32_e32 v0, v0, v0
	v_min_f32_e32 v5, v0, v2
.LBB0_167:                              ;   in Loop: Header=BB0_115 Depth=3
	s_or_b64 exec, exec, s[76:77]
	v_and_b32_e32 v27, 0x7f800000, v5
	v_mov_b32_e32 v28, v59
	v_cmp_ne_u64_e32 vcc, s[58:59], v[27:28]
	v_and_b32_e32 v2, 0x7fffff, v5
	v_mov_b32_e32 v3, v59
                                        ; implicit-def: $vgpr56
	s_and_saveexec_b64 s[20:21], vcc
	s_xor_b64 s[76:77], exec, s[20:21]
	s_cbranch_execz .LBB0_181
; %bb.168:                              ;   in Loop: Header=BB0_115 Depth=3
	v_and_b32_e32 v27, 0x7fffffff, v5
	v_mov_b32_e32 v28, v59
	v_cmp_gt_u64_e32 vcc, s[60:61], v[27:28]
	v_and_b32_sdwa v0, v5, s50 dst_sel:DWORD dst_unused:UNUSED_PAD src0_sel:BYTE_3 src1_sel:DWORD
                                        ; implicit-def: $vgpr56
	s_and_saveexec_b64 s[20:21], vcc
	s_xor_b64 s[78:79], exec, s[20:21]
	s_cbranch_execz .LBB0_178
; %bb.169:                              ;   in Loop: Header=BB0_115 Depth=3
	v_mov_b32_e32 v56, 0
	v_cmp_ne_u32_e32 vcc, 0, v5
	s_and_saveexec_b64 s[88:89], vcc
	s_cbranch_execz .LBB0_177
; %bb.170:                              ;   in Loop: Header=BB0_115 Depth=3
	v_bfe_u32 v17, v5, 23, 8
	v_cmp_gt_u32_e64 s[20:21], s51, v17
	v_sub_u32_e32 v5, 0x71, v17
	v_cmp_eq_u32_e32 vcc, 0, v17
	v_cndmask_b32_e64 v5, 0, v5, s[20:21]
	v_cndmask_b32_e32 v20, v5, v25, vcc
	v_or_b32_e32 v6, 0x800000, v2
	v_add_u32_e32 v5, 21, v20
	v_cndmask_b32_e32 v2, v6, v2, vcc
	v_lshlrev_b64 v[5:6], v5, -1
	v_add_u32_e32 v23, 20, v20
	v_bfi_b32 v5, v5, 0, v2
	v_lshlrev_b64 v[27:28], v23, 1
	v_lshrrev_b64 v[2:3], v20, v[2:3]
	v_bfi_b32 v6, v6, 0, 0
	v_cmp_eq_u64_e64 s[20:21], v[5:6], v[27:28]
	v_mov_b32_e32 v6, v3
	v_mov_b32_e32 v5, v2
	s_and_saveexec_b64 s[90:91], s[20:21]
; %bb.171:                              ;   in Loop: Header=BB0_115 Depth=3
	v_bfe_u32 v3, v2, 21, 1
	v_add_co_u32_e64 v3, s[20:21], v2, v3
	v_add_co_u32_e64 v5, s[20:21], -1, v3
; %bb.172:                              ;   in Loop: Header=BB0_115 Depth=3
	s_or_b64 exec, exec, s[90:91]
	v_add_u32_e32 v3, 0xffffff81, v17
	v_cndmask_b32_e32 v3, v3, v48, vcc
	v_lshrrev_b32_e32 v6, 23, v2
	v_add3_u32 v17, v20, v3, v6
	v_add_u32_e32 v6, 14, v17
	v_and_b32_e32 v3, 0x1fffff, v5
	v_add_u32_e32 v2, v3, v2
	v_mov_b32_e32 v3, v59
	v_cmp_ne_u32_e32 vcc, 0, v6
                                        ; implicit-def: $vgpr5
	s_and_saveexec_b64 s[20:21], vcc
	s_xor_b64 s[20:21], exec, s[20:21]
; %bb.173:                              ;   in Loop: Header=BB0_115 Depth=3
	v_cmp_lt_u64_e32 vcc, s[62:63], v[2:3]
	v_add_u32_e32 v5, 15, v17
	v_cndmask_b32_e32 v5, v6, v5, vcc
	v_cndmask_b32_e64 v6, 0, 1, vcc
	v_lshrrev_b64 v[2:3], v6, v[2:3]
; %bb.174:                              ;   in Loop: Header=BB0_115 Depth=3
	s_andn2_saveexec_b64 s[20:21], s[20:21]
; %bb.175:                              ;   in Loop: Header=BB0_115 Depth=3
	v_bfe_u32 v5, v2, 23, 1
; %bb.176:                              ;   in Loop: Header=BB0_115 Depth=3
	s_or_b64 exec, exec, s[20:21]
	v_lshrrev_b64 v[2:3], 21, v[2:3]
	v_cmp_gt_i32_e32 vcc, 32, v5
	v_cndmask_b32_e32 v3, 0, v3, vcc
	v_cndmask_b32_e32 v2, 3, v2, vcc
	v_cmp_eq_u64_e64 s[20:21], 0, v[2:3]
	v_min_i32_e32 v3, 31, v5
	v_lshlrev_b32_e32 v3, 2, v3
	v_cmp_eq_u32_e32 vcc, 0, v5
	v_and_b32_e32 v3, 0xfc, v3
	v_and_or_b32 v2, v2, 3, v3
	s_and_b64 s[20:21], vcc, s[20:21]
	v_cndmask_b32_e64 v2, v2, 0, s[20:21]
	v_or_b32_e32 v56, v2, v0
.LBB0_177:                              ;   in Loop: Header=BB0_115 Depth=3
	s_or_b64 exec, exec, s[88:89]
                                        ; implicit-def: $vgpr0
.LBB0_178:                              ;   in Loop: Header=BB0_115 Depth=3
	s_andn2_saveexec_b64 s[20:21], s[78:79]
; %bb.179:                              ;   in Loop: Header=BB0_115 Depth=3
	v_or_b32_e32 v56, 0x7b, v0
; %bb.180:                              ;   in Loop: Header=BB0_115 Depth=3
	s_or_b64 exec, exec, s[20:21]
                                        ; implicit-def: $vgpr5
                                        ; implicit-def: $vgpr2_vgpr3
.LBB0_181:                              ;   in Loop: Header=BB0_115 Depth=3
	s_andn2_saveexec_b64 s[20:21], s[76:77]
	s_cbranch_execz .LBB0_187
; %bb.182:                              ;   in Loop: Header=BB0_115 Depth=3
	v_cmp_ne_u64_e32 vcc, 0, v[2:3]
                                        ; implicit-def: $vgpr56
	s_and_saveexec_b64 s[76:77], vcc
	s_xor_b64 s[76:77], exec, s[76:77]
; %bb.183:                              ;   in Loop: Header=BB0_115 Depth=3
	v_or_b32_sdwa v56, v5, s52 dst_sel:DWORD dst_unused:UNUSED_PAD src0_sel:BYTE_3 src1_sel:DWORD
                                        ; implicit-def: $vgpr5
; %bb.184:                              ;   in Loop: Header=BB0_115 Depth=3
	s_andn2_saveexec_b64 s[76:77], s[76:77]
; %bb.185:                              ;   in Loop: Header=BB0_115 Depth=3
	v_cmp_lt_i32_e32 vcc, -1, v5
	v_cndmask_b32_e32 v56, v49, v31, vcc
; %bb.186:                              ;   in Loop: Header=BB0_115 Depth=3
	s_or_b64 exec, exec, s[76:77]
.LBB0_187:                              ;   in Loop: Header=BB0_115 Depth=3
	s_or_b64 exec, exec, s[20:21]
	v_lshrrev_b16_e32 v2, 8, v19
	v_lshrrev_b16_e32 v27, 8, v58
	v_cmp_ne_u16_e32 vcc, 0, v2
                                        ; implicit-def: $vgpr5
	s_and_saveexec_b64 s[20:21], s[14:15]
	s_xor_b64 s[76:77], exec, s[20:21]
	s_cbranch_execz .LBB0_205
; %bb.188:                              ;   in Loop: Header=BB0_115 Depth=3
	v_mov_b32_e32 v5, 0
	v_mov_b32_e32 v0, 0
	s_and_saveexec_b64 s[78:79], vcc
	s_cbranch_execz .LBB0_196
; %bb.189:                              ;   in Loop: Header=BB0_115 Depth=3
	v_cmp_ne_u16_e64 s[20:21], s50, v2
	v_bfrev_b32_e32 v0, 1
	s_and_saveexec_b64 s[88:89], s[20:21]
	s_cbranch_execz .LBB0_195
; %bb.190:                              ;   in Loop: Header=BB0_115 Depth=3
	v_and_b32_e32 v0, 0x7c, v2
	v_and_b32_e32 v6, 3, v2
	v_cmp_ne_u32_e64 s[20:21], s49, v0
                                        ; implicit-def: $vgpr0
	s_and_saveexec_b64 s[90:91], s[20:21]
	s_xor_b64 s[90:91], exec, s[90:91]
	s_cbranch_execz .LBB0_192
; %bb.191:                              ;   in Loop: Header=BB0_115 Depth=3
	v_ffbh_u32_e32 v17, v6
	v_min_u32_e32 v17, 32, v17
	v_mov_b32_e32 v3, v59
	v_subrev_u32_e32 v20, 29, v17
	v_bfe_u32 v0, v2, 2, 5
	v_lshlrev_b64 v[2:3], v20, v[2:3]
	v_sub_u32_e32 v3, 30, v17
	v_cmp_eq_u32_e64 s[20:21], 0, v0
	v_cndmask_b32_e64 v0, v0, v3, s[20:21]
	v_lshlrev_b32_e32 v3, 16, v19
	v_and_b32_e32 v2, 3, v2
	v_and_b32_e32 v3, 0x80000000, v3
	v_cndmask_b32_e64 v2, v6, v2, s[20:21]
	v_lshl_add_u32 v0, v0, 23, v3
	v_lshl_or_b32 v0, v2, 21, v0
	v_add_u32_e32 v0, 0x38000000, v0
                                        ; implicit-def: $vgpr6
.LBB0_192:                              ;   in Loop: Header=BB0_115 Depth=3
	s_andn2_saveexec_b64 s[90:91], s[90:91]
; %bb.193:                              ;   in Loop: Header=BB0_115 Depth=3
	v_cmp_lt_i16_e64 s[20:21], -1, v19
	v_cndmask_b32_e64 v0, v8, v54, s[20:21]
	v_cmp_eq_u32_e64 s[20:21], 0, v6
	v_cndmask_b32_e64 v0, v55, v0, s[20:21]
; %bb.194:                              ;   in Loop: Header=BB0_115 Depth=3
	s_or_b64 exec, exec, s[90:91]
.LBB0_195:                              ;   in Loop: Header=BB0_115 Depth=3
	s_or_b64 exec, exec, s[88:89]
.LBB0_196:                              ;   in Loop: Header=BB0_115 Depth=3
	s_or_b64 exec, exec, s[78:79]
	v_cmp_ne_u16_e64 s[20:21], 0, v27
	s_and_saveexec_b64 s[78:79], s[20:21]
	s_cbranch_execz .LBB0_204
; %bb.197:                              ;   in Loop: Header=BB0_115 Depth=3
	v_cmp_ne_u16_e64 s[20:21], s50, v27
	v_bfrev_b32_e32 v5, 1
	s_and_saveexec_b64 s[88:89], s[20:21]
	s_cbranch_execz .LBB0_203
; %bb.198:                              ;   in Loop: Header=BB0_115 Depth=3
	v_and_b32_e32 v3, 0x7c, v27
	v_and_b32_e32 v2, 3, v27
	v_cmp_ne_u32_e64 s[20:21], s49, v3
                                        ; implicit-def: $vgpr5
	s_and_saveexec_b64 s[90:91], s[20:21]
	s_xor_b64 s[90:91], exec, s[90:91]
	s_cbranch_execz .LBB0_200
; %bb.199:                              ;   in Loop: Header=BB0_115 Depth=3
	v_ffbh_u32_e32 v5, v2
	v_min_u32_e32 v17, 32, v5
	v_mov_b32_e32 v28, v59
	v_subrev_u32_e32 v5, 29, v17
	v_lshlrev_b64 v[5:6], v5, v[27:28]
	v_bfe_u32 v3, v27, 2, 5
	v_and_b32_e32 v5, 3, v5
	v_cmp_eq_u32_e64 s[20:21], 0, v3
	v_sub_u32_e32 v6, 30, v17
	v_cndmask_b32_e64 v2, v2, v5, s[20:21]
	v_lshlrev_b32_e32 v5, 16, v58
	v_cndmask_b32_e64 v3, v3, v6, s[20:21]
	v_and_b32_e32 v5, 0x80000000, v5
	v_lshl_add_u32 v3, v3, 23, v5
	v_lshl_or_b32 v2, v2, 21, v3
	v_add_u32_e32 v5, 0x38000000, v2
                                        ; implicit-def: $vgpr2
.LBB0_200:                              ;   in Loop: Header=BB0_115 Depth=3
	s_andn2_saveexec_b64 s[90:91], s[90:91]
; %bb.201:                              ;   in Loop: Header=BB0_115 Depth=3
	v_cmp_lt_i16_e64 s[20:21], -1, v58
	v_cndmask_b32_e64 v3, v8, v54, s[20:21]
	v_cmp_eq_u32_e64 s[20:21], 0, v2
	v_cndmask_b32_e64 v5, v55, v3, s[20:21]
; %bb.202:                              ;   in Loop: Header=BB0_115 Depth=3
	s_or_b64 exec, exec, s[90:91]
.LBB0_203:                              ;   in Loop: Header=BB0_115 Depth=3
	s_or_b64 exec, exec, s[88:89]
.LBB0_204:                              ;   in Loop: Header=BB0_115 Depth=3
	s_or_b64 exec, exec, s[78:79]
	v_max_f32_e32 v2, v5, v5
	v_max_f32_e32 v0, v0, v0
	;; [unrolled: 1-line block ×3, first 2 shown]
                                        ; implicit-def: $vgpr27
                                        ; implicit-def: $vgpr2
.LBB0_205:                              ;   in Loop: Header=BB0_115 Depth=3
	s_andn2_saveexec_b64 s[20:21], s[76:77]
	s_cbranch_execz .LBB0_223
; %bb.206:                              ;   in Loop: Header=BB0_115 Depth=3
	v_mov_b32_e32 v5, 0
	v_mov_b32_e32 v0, 0
	s_and_saveexec_b64 s[76:77], vcc
	s_cbranch_execz .LBB0_214
; %bb.207:                              ;   in Loop: Header=BB0_115 Depth=3
	v_cmp_ne_u16_e32 vcc, s50, v2
	v_bfrev_b32_e32 v0, 1
	s_and_saveexec_b64 s[78:79], vcc
	s_cbranch_execz .LBB0_213
; %bb.208:                              ;   in Loop: Header=BB0_115 Depth=3
	v_and_b32_e32 v0, 0x7c, v2
	v_and_b32_e32 v6, 3, v2
	v_cmp_ne_u32_e32 vcc, s49, v0
                                        ; implicit-def: $vgpr0
	s_and_saveexec_b64 s[88:89], vcc
	s_xor_b64 s[88:89], exec, s[88:89]
	s_cbranch_execz .LBB0_210
; %bb.209:                              ;   in Loop: Header=BB0_115 Depth=3
	v_ffbh_u32_e32 v17, v6
	v_min_u32_e32 v17, 32, v17
	v_mov_b32_e32 v3, v59
	v_subrev_u32_e32 v20, 29, v17
	v_bfe_u32 v0, v2, 2, 5
	v_lshlrev_b64 v[2:3], v20, v[2:3]
	v_sub_u32_e32 v3, 30, v17
	v_cmp_eq_u32_e32 vcc, 0, v0
	v_cndmask_b32_e32 v0, v0, v3, vcc
	v_lshlrev_b32_e32 v3, 16, v19
	v_and_b32_e32 v2, 3, v2
	v_and_b32_e32 v3, 0x80000000, v3
	v_cndmask_b32_e32 v2, v6, v2, vcc
	v_lshl_add_u32 v0, v0, 23, v3
	v_lshl_or_b32 v0, v2, 21, v0
	v_add_u32_e32 v0, 0x38000000, v0
                                        ; implicit-def: $vgpr6
.LBB0_210:                              ;   in Loop: Header=BB0_115 Depth=3
	s_andn2_saveexec_b64 s[88:89], s[88:89]
; %bb.211:                              ;   in Loop: Header=BB0_115 Depth=3
	v_cmp_lt_i16_e32 vcc, -1, v19
	v_cndmask_b32_e32 v0, v8, v54, vcc
	v_cmp_eq_u32_e32 vcc, 0, v6
	v_cndmask_b32_e32 v0, v55, v0, vcc
; %bb.212:                              ;   in Loop: Header=BB0_115 Depth=3
	s_or_b64 exec, exec, s[88:89]
.LBB0_213:                              ;   in Loop: Header=BB0_115 Depth=3
	s_or_b64 exec, exec, s[78:79]
.LBB0_214:                              ;   in Loop: Header=BB0_115 Depth=3
	s_or_b64 exec, exec, s[76:77]
	v_cmp_ne_u16_e32 vcc, 0, v27
	s_and_saveexec_b64 s[76:77], vcc
	s_cbranch_execz .LBB0_222
; %bb.215:                              ;   in Loop: Header=BB0_115 Depth=3
	v_cmp_ne_u16_e32 vcc, s50, v27
	v_bfrev_b32_e32 v5, 1
	s_and_saveexec_b64 s[78:79], vcc
	s_cbranch_execz .LBB0_221
; %bb.216:                              ;   in Loop: Header=BB0_115 Depth=3
	v_and_b32_e32 v3, 0x7c, v27
	v_and_b32_e32 v2, 3, v27
	v_cmp_ne_u32_e32 vcc, s49, v3
                                        ; implicit-def: $vgpr5
	s_and_saveexec_b64 s[88:89], vcc
	s_xor_b64 s[88:89], exec, s[88:89]
	s_cbranch_execz .LBB0_218
; %bb.217:                              ;   in Loop: Header=BB0_115 Depth=3
	v_ffbh_u32_e32 v5, v2
	v_min_u32_e32 v17, 32, v5
	v_mov_b32_e32 v28, v59
	v_subrev_u32_e32 v5, 29, v17
	v_lshlrev_b64 v[5:6], v5, v[27:28]
	v_bfe_u32 v3, v27, 2, 5
	v_and_b32_e32 v5, 3, v5
	v_cmp_eq_u32_e32 vcc, 0, v3
	v_sub_u32_e32 v6, 30, v17
	v_cndmask_b32_e32 v2, v2, v5, vcc
	v_lshlrev_b32_e32 v5, 16, v58
	v_cndmask_b32_e32 v3, v3, v6, vcc
	v_and_b32_e32 v5, 0x80000000, v5
	v_lshl_add_u32 v3, v3, 23, v5
	v_lshl_or_b32 v2, v2, 21, v3
	v_add_u32_e32 v5, 0x38000000, v2
                                        ; implicit-def: $vgpr2
.LBB0_218:                              ;   in Loop: Header=BB0_115 Depth=3
	s_andn2_saveexec_b64 s[88:89], s[88:89]
; %bb.219:                              ;   in Loop: Header=BB0_115 Depth=3
	v_cmp_lt_i16_e32 vcc, -1, v58
	v_cndmask_b32_e32 v3, v8, v54, vcc
	v_cmp_eq_u32_e32 vcc, 0, v2
	v_cndmask_b32_e32 v5, v55, v3, vcc
; %bb.220:                              ;   in Loop: Header=BB0_115 Depth=3
	s_or_b64 exec, exec, s[88:89]
.LBB0_221:                              ;   in Loop: Header=BB0_115 Depth=3
	s_or_b64 exec, exec, s[78:79]
.LBB0_222:                              ;   in Loop: Header=BB0_115 Depth=3
	s_or_b64 exec, exec, s[76:77]
	v_max_f32_e32 v2, v5, v5
	v_max_f32_e32 v0, v0, v0
	v_min_f32_e32 v5, v0, v2
.LBB0_223:                              ;   in Loop: Header=BB0_115 Depth=3
	s_or_b64 exec, exec, s[20:21]
	v_and_b32_e32 v27, 0x7f800000, v5
	v_mov_b32_e32 v28, v59
	v_cmp_ne_u64_e32 vcc, s[58:59], v[27:28]
	v_and_b32_e32 v2, 0x7fffff, v5
	v_mov_b32_e32 v3, v59
                                        ; implicit-def: $vgpr57
	s_and_saveexec_b64 s[20:21], vcc
	s_xor_b64 s[76:77], exec, s[20:21]
	s_cbranch_execz .LBB0_237
; %bb.224:                              ;   in Loop: Header=BB0_115 Depth=3
	v_and_b32_e32 v27, 0x7fffffff, v5
	v_mov_b32_e32 v28, v59
	v_cmp_gt_u64_e32 vcc, s[60:61], v[27:28]
	v_and_b32_sdwa v0, v5, s50 dst_sel:DWORD dst_unused:UNUSED_PAD src0_sel:BYTE_3 src1_sel:DWORD
                                        ; implicit-def: $vgpr57
	s_and_saveexec_b64 s[20:21], vcc
	s_xor_b64 s[78:79], exec, s[20:21]
	s_cbranch_execz .LBB0_234
; %bb.225:                              ;   in Loop: Header=BB0_115 Depth=3
	v_mov_b32_e32 v57, 0
	v_cmp_ne_u32_e32 vcc, 0, v5
	s_and_saveexec_b64 s[88:89], vcc
	s_cbranch_execz .LBB0_233
; %bb.226:                              ;   in Loop: Header=BB0_115 Depth=3
	v_bfe_u32 v17, v5, 23, 8
	v_cmp_gt_u32_e64 s[20:21], s51, v17
	v_sub_u32_e32 v5, 0x71, v17
	v_cmp_eq_u32_e32 vcc, 0, v17
	v_cndmask_b32_e64 v5, 0, v5, s[20:21]
	v_cndmask_b32_e32 v20, v5, v25, vcc
	v_or_b32_e32 v6, 0x800000, v2
	v_add_u32_e32 v5, 21, v20
	v_cndmask_b32_e32 v2, v6, v2, vcc
	v_lshlrev_b64 v[5:6], v5, -1
	v_add_u32_e32 v23, 20, v20
	v_bfi_b32 v5, v5, 0, v2
	v_lshlrev_b64 v[27:28], v23, 1
	v_lshrrev_b64 v[2:3], v20, v[2:3]
	v_bfi_b32 v6, v6, 0, 0
	v_cmp_eq_u64_e64 s[20:21], v[5:6], v[27:28]
	v_mov_b32_e32 v6, v3
	v_mov_b32_e32 v5, v2
	s_and_saveexec_b64 s[90:91], s[20:21]
; %bb.227:                              ;   in Loop: Header=BB0_115 Depth=3
	v_bfe_u32 v3, v2, 21, 1
	v_add_co_u32_e64 v3, s[20:21], v2, v3
	v_add_co_u32_e64 v5, s[20:21], -1, v3
; %bb.228:                              ;   in Loop: Header=BB0_115 Depth=3
	s_or_b64 exec, exec, s[90:91]
	v_add_u32_e32 v3, 0xffffff81, v17
	v_cndmask_b32_e32 v3, v3, v48, vcc
	v_lshrrev_b32_e32 v6, 23, v2
	v_add3_u32 v17, v20, v3, v6
	v_add_u32_e32 v6, 14, v17
	v_and_b32_e32 v3, 0x1fffff, v5
	v_add_u32_e32 v2, v3, v2
	v_mov_b32_e32 v3, v59
	v_cmp_ne_u32_e32 vcc, 0, v6
                                        ; implicit-def: $vgpr5
	s_and_saveexec_b64 s[20:21], vcc
	s_xor_b64 s[20:21], exec, s[20:21]
; %bb.229:                              ;   in Loop: Header=BB0_115 Depth=3
	v_cmp_lt_u64_e32 vcc, s[62:63], v[2:3]
	v_add_u32_e32 v5, 15, v17
	v_cndmask_b32_e32 v5, v6, v5, vcc
	v_cndmask_b32_e64 v6, 0, 1, vcc
	v_lshrrev_b64 v[2:3], v6, v[2:3]
; %bb.230:                              ;   in Loop: Header=BB0_115 Depth=3
	s_andn2_saveexec_b64 s[20:21], s[20:21]
; %bb.231:                              ;   in Loop: Header=BB0_115 Depth=3
	v_bfe_u32 v5, v2, 23, 1
; %bb.232:                              ;   in Loop: Header=BB0_115 Depth=3
	s_or_b64 exec, exec, s[20:21]
	v_lshrrev_b64 v[2:3], 21, v[2:3]
	v_cmp_gt_i32_e32 vcc, 32, v5
	v_cndmask_b32_e32 v3, 0, v3, vcc
	v_cndmask_b32_e32 v2, 3, v2, vcc
	v_cmp_eq_u64_e64 s[20:21], 0, v[2:3]
	v_min_i32_e32 v3, 31, v5
	v_lshlrev_b32_e32 v3, 2, v3
	v_cmp_eq_u32_e32 vcc, 0, v5
	v_and_b32_e32 v3, 0xfc, v3
	v_and_or_b32 v2, v2, 3, v3
	s_and_b64 s[20:21], vcc, s[20:21]
	v_cndmask_b32_e64 v2, v2, 0, s[20:21]
	v_or_b32_e32 v57, v2, v0
.LBB0_233:                              ;   in Loop: Header=BB0_115 Depth=3
	s_or_b64 exec, exec, s[88:89]
                                        ; implicit-def: $vgpr0
.LBB0_234:                              ;   in Loop: Header=BB0_115 Depth=3
	s_andn2_saveexec_b64 s[20:21], s[78:79]
; %bb.235:                              ;   in Loop: Header=BB0_115 Depth=3
	v_or_b32_e32 v57, 0x7b, v0
; %bb.236:                              ;   in Loop: Header=BB0_115 Depth=3
	s_or_b64 exec, exec, s[20:21]
                                        ; implicit-def: $vgpr5
                                        ; implicit-def: $vgpr2_vgpr3
.LBB0_237:                              ;   in Loop: Header=BB0_115 Depth=3
	s_andn2_saveexec_b64 s[20:21], s[76:77]
	s_cbranch_execz .LBB0_243
; %bb.238:                              ;   in Loop: Header=BB0_115 Depth=3
	v_cmp_ne_u64_e32 vcc, 0, v[2:3]
                                        ; implicit-def: $vgpr57
	s_and_saveexec_b64 s[76:77], vcc
	s_xor_b64 s[76:77], exec, s[76:77]
; %bb.239:                              ;   in Loop: Header=BB0_115 Depth=3
	v_or_b32_sdwa v57, v5, s52 dst_sel:DWORD dst_unused:UNUSED_PAD src0_sel:BYTE_3 src1_sel:DWORD
                                        ; implicit-def: $vgpr5
; %bb.240:                              ;   in Loop: Header=BB0_115 Depth=3
	s_andn2_saveexec_b64 s[76:77], s[76:77]
; %bb.241:                              ;   in Loop: Header=BB0_115 Depth=3
	v_cmp_lt_i32_e32 vcc, -1, v5
	v_cndmask_b32_e32 v57, v49, v31, vcc
; %bb.242:                              ;   in Loop: Header=BB0_115 Depth=3
	s_or_b64 exec, exec, s[76:77]
.LBB0_243:                              ;   in Loop: Header=BB0_115 Depth=3
	s_or_b64 exec, exec, s[20:21]
	v_lshrrev_b32_e32 v17, 16, v19
	v_lshrrev_b32_e32 v0, 16, v58
	v_cmp_ne_u16_sdwa s[20:21], v17, v59 src0_sel:BYTE_0 src1_sel:DWORD
                                        ; implicit-def: $vgpr5
	s_and_saveexec_b64 s[76:77], s[14:15]
	s_xor_b64 s[76:77], exec, s[76:77]
	s_cbranch_execz .LBB0_261
; %bb.244:                              ;   in Loop: Header=BB0_115 Depth=3
	v_mov_b32_e32 v3, 0
	v_mov_b32_e32 v2, 0
	s_and_saveexec_b64 s[78:79], s[20:21]
	s_cbranch_execz .LBB0_252
; %bb.245:                              ;   in Loop: Header=BB0_115 Depth=3
	v_cmp_ne_u16_sdwa s[90:91], v17, s50 src0_sel:BYTE_0 src1_sel:DWORD
	v_bfrev_b32_e32 v2, 1
	s_and_saveexec_b64 s[88:89], s[90:91]
	s_cbranch_execz .LBB0_251
; %bb.246:                              ;   in Loop: Header=BB0_115 Depth=3
	v_and_b32_e32 v2, 0x7c0000, v19
	v_bfe_u32 v5, v19, 16, 2
	v_cmp_ne_u32_e32 vcc, s53, v2
                                        ; implicit-def: $vgpr2
	s_and_saveexec_b64 s[90:91], vcc
	s_xor_b64 s[90:91], exec, s[90:91]
	s_cbranch_execz .LBB0_248
; %bb.247:                              ;   in Loop: Header=BB0_115 Depth=3
	v_ffbh_u32_e32 v6, v5
	v_min_u32_e32 v6, 32, v6
	v_bfe_u32 v2, v19, 18, 5
	v_subrev_u32_e32 v20, 29, v6
	v_lshlrev_b64 v[27:28], v20, v[17:18]
	v_sub_u32_e32 v6, 30, v6
	v_cmp_eq_u32_e32 vcc, 0, v2
	v_cndmask_b32_e32 v2, v2, v6, vcc
	v_lshlrev_b32_e32 v6, 24, v17
	v_and_b32_e32 v20, 3, v27
	v_and_b32_e32 v6, 0x80000000, v6
	v_cndmask_b32_e32 v5, v5, v20, vcc
	v_lshl_add_u32 v2, v2, 23, v6
	v_lshl_or_b32 v2, v5, 21, v2
	v_add_u32_e32 v2, 0x38000000, v2
                                        ; implicit-def: $vgpr5
                                        ; implicit-def: $vgpr17
.LBB0_248:                              ;   in Loop: Header=BB0_115 Depth=3
	s_andn2_saveexec_b64 s[90:91], s[90:91]
; %bb.249:                              ;   in Loop: Header=BB0_115 Depth=3
	v_cmp_gt_i16_sdwa vcc, sext(v17), v43 src0_sel:BYTE_0 src1_sel:DWORD
	v_cndmask_b32_e32 v2, v8, v54, vcc
	v_cmp_eq_u32_e32 vcc, 0, v5
	v_cndmask_b32_e32 v2, v55, v2, vcc
; %bb.250:                              ;   in Loop: Header=BB0_115 Depth=3
	s_or_b64 exec, exec, s[90:91]
.LBB0_251:                              ;   in Loop: Header=BB0_115 Depth=3
	s_or_b64 exec, exec, s[88:89]
.LBB0_252:                              ;   in Loop: Header=BB0_115 Depth=3
	s_or_b64 exec, exec, s[78:79]
	v_and_b32_sdwa v6, v58, s39 dst_sel:DWORD dst_unused:UNUSED_PAD src0_sel:WORD_1 src1_sel:DWORD
	v_lshrrev_b32_e32 v5, 16, v58
	v_cmp_ne_u16_e32 vcc, 0, v6
	s_and_saveexec_b64 s[78:79], vcc
	s_cbranch_execz .LBB0_260
; %bb.253:                              ;   in Loop: Header=BB0_115 Depth=3
	v_cmp_ne_u16_e32 vcc, s50, v6
	v_bfrev_b32_e32 v3, 1
	s_and_saveexec_b64 s[88:89], vcc
	s_cbranch_execz .LBB0_259
; %bb.254:                              ;   in Loop: Header=BB0_115 Depth=3
	v_and_b32_e32 v3, 0x7c0000, v58
	v_bfe_u32 v6, v58, 16, 2
	v_cmp_ne_u32_e32 vcc, s53, v3
                                        ; implicit-def: $vgpr3
	s_and_saveexec_b64 s[90:91], vcc
	s_xor_b64 s[90:91], exec, s[90:91]
	s_cbranch_execz .LBB0_256
; %bb.255:                              ;   in Loop: Header=BB0_115 Depth=3
	v_ffbh_u32_e32 v5, v6
	v_min_u32_e32 v5, 32, v5
	v_subrev_u32_e32 v17, 29, v5
	v_bfe_u32 v3, v58, 18, 5
	v_lshlrev_b64 v[27:28], v17, v[0:1]
	v_sub_u32_e32 v5, 30, v5
	v_cmp_eq_u32_e32 vcc, 0, v3
	v_lshlrev_b32_e32 v0, 24, v0
	v_and_b32_e32 v17, 3, v27
	v_cndmask_b32_e32 v3, v3, v5, vcc
	v_and_b32_e32 v0, 0x80000000, v0
	v_cndmask_b32_e32 v5, v6, v17, vcc
	v_lshl_add_u32 v0, v3, 23, v0
	v_lshl_or_b32 v0, v5, 21, v0
	v_add_u32_e32 v3, 0x38000000, v0
                                        ; implicit-def: $vgpr6
                                        ; implicit-def: $vgpr5
.LBB0_256:                              ;   in Loop: Header=BB0_115 Depth=3
	s_andn2_saveexec_b64 s[90:91], s[90:91]
; %bb.257:                              ;   in Loop: Header=BB0_115 Depth=3
	v_cmp_gt_i16_sdwa vcc, sext(v5), v43 src0_sel:BYTE_0 src1_sel:DWORD
	v_cndmask_b32_e32 v0, v8, v54, vcc
	v_cmp_eq_u32_e32 vcc, 0, v6
	v_cndmask_b32_e32 v3, v55, v0, vcc
; %bb.258:                              ;   in Loop: Header=BB0_115 Depth=3
	s_or_b64 exec, exec, s[90:91]
.LBB0_259:                              ;   in Loop: Header=BB0_115 Depth=3
	s_or_b64 exec, exec, s[88:89]
.LBB0_260:                              ;   in Loop: Header=BB0_115 Depth=3
	s_or_b64 exec, exec, s[78:79]
	v_max_f32_e32 v0, v3, v3
	v_max_f32_e32 v2, v2, v2
	;; [unrolled: 1-line block ×3, first 2 shown]
                                        ; implicit-def: $vgpr17
                                        ; implicit-def: $vgpr0
.LBB0_261:                              ;   in Loop: Header=BB0_115 Depth=3
	s_andn2_saveexec_b64 s[76:77], s[76:77]
	s_cbranch_execz .LBB0_279
; %bb.262:                              ;   in Loop: Header=BB0_115 Depth=3
	v_mov_b32_e32 v3, 0
	v_mov_b32_e32 v2, 0
	s_and_saveexec_b64 s[78:79], s[20:21]
	s_cbranch_execz .LBB0_270
; %bb.263:                              ;   in Loop: Header=BB0_115 Depth=3
	v_cmp_ne_u16_sdwa s[88:89], v17, s50 src0_sel:BYTE_0 src1_sel:DWORD
	v_bfrev_b32_e32 v2, 1
	s_and_saveexec_b64 s[20:21], s[88:89]
	s_cbranch_execz .LBB0_269
; %bb.264:                              ;   in Loop: Header=BB0_115 Depth=3
	v_and_b32_e32 v2, 0x7c0000, v19
	v_bfe_u32 v5, v19, 16, 2
	v_cmp_ne_u32_e32 vcc, s53, v2
                                        ; implicit-def: $vgpr2
	s_and_saveexec_b64 s[88:89], vcc
	s_xor_b64 s[88:89], exec, s[88:89]
	s_cbranch_execz .LBB0_266
; %bb.265:                              ;   in Loop: Header=BB0_115 Depth=3
	v_ffbh_u32_e32 v6, v5
	v_min_u32_e32 v6, 32, v6
	v_bfe_u32 v2, v19, 18, 5
	v_subrev_u32_e32 v20, 29, v6
	v_lshlrev_b64 v[27:28], v20, v[17:18]
	v_sub_u32_e32 v6, 30, v6
	v_cmp_eq_u32_e32 vcc, 0, v2
	v_cndmask_b32_e32 v2, v2, v6, vcc
	v_lshlrev_b32_e32 v6, 24, v17
	v_and_b32_e32 v20, 3, v27
	v_and_b32_e32 v6, 0x80000000, v6
	v_cndmask_b32_e32 v5, v5, v20, vcc
	v_lshl_add_u32 v2, v2, 23, v6
	v_lshl_or_b32 v2, v5, 21, v2
	v_add_u32_e32 v2, 0x38000000, v2
                                        ; implicit-def: $vgpr5
                                        ; implicit-def: $vgpr17
.LBB0_266:                              ;   in Loop: Header=BB0_115 Depth=3
	s_andn2_saveexec_b64 s[88:89], s[88:89]
; %bb.267:                              ;   in Loop: Header=BB0_115 Depth=3
	v_cmp_gt_i16_sdwa vcc, sext(v17), v43 src0_sel:BYTE_0 src1_sel:DWORD
	v_cndmask_b32_e32 v2, v8, v54, vcc
	v_cmp_eq_u32_e32 vcc, 0, v5
	v_cndmask_b32_e32 v2, v55, v2, vcc
; %bb.268:                              ;   in Loop: Header=BB0_115 Depth=3
	s_or_b64 exec, exec, s[88:89]
.LBB0_269:                              ;   in Loop: Header=BB0_115 Depth=3
	s_or_b64 exec, exec, s[20:21]
.LBB0_270:                              ;   in Loop: Header=BB0_115 Depth=3
	s_or_b64 exec, exec, s[78:79]
	v_and_b32_sdwa v6, v58, s39 dst_sel:DWORD dst_unused:UNUSED_PAD src0_sel:WORD_1 src1_sel:DWORD
	v_lshrrev_b32_e32 v5, 16, v58
	v_cmp_ne_u16_e32 vcc, 0, v6
	s_and_saveexec_b64 s[20:21], vcc
	s_cbranch_execz .LBB0_278
; %bb.271:                              ;   in Loop: Header=BB0_115 Depth=3
	v_cmp_ne_u16_e32 vcc, s50, v6
	v_bfrev_b32_e32 v3, 1
	s_and_saveexec_b64 s[78:79], vcc
	s_cbranch_execz .LBB0_277
; %bb.272:                              ;   in Loop: Header=BB0_115 Depth=3
	v_and_b32_e32 v3, 0x7c0000, v58
	v_bfe_u32 v6, v58, 16, 2
	v_cmp_ne_u32_e32 vcc, s53, v3
                                        ; implicit-def: $vgpr3
	s_and_saveexec_b64 s[88:89], vcc
	s_xor_b64 s[88:89], exec, s[88:89]
	s_cbranch_execz .LBB0_274
; %bb.273:                              ;   in Loop: Header=BB0_115 Depth=3
	v_ffbh_u32_e32 v5, v6
	v_min_u32_e32 v5, 32, v5
	v_subrev_u32_e32 v17, 29, v5
	v_bfe_u32 v3, v58, 18, 5
	v_lshlrev_b64 v[27:28], v17, v[0:1]
	v_sub_u32_e32 v5, 30, v5
	v_cmp_eq_u32_e32 vcc, 0, v3
	v_lshlrev_b32_e32 v0, 24, v0
	v_and_b32_e32 v17, 3, v27
	v_cndmask_b32_e32 v3, v3, v5, vcc
	v_and_b32_e32 v0, 0x80000000, v0
	v_cndmask_b32_e32 v5, v6, v17, vcc
	v_lshl_add_u32 v0, v3, 23, v0
	v_lshl_or_b32 v0, v5, 21, v0
	v_add_u32_e32 v3, 0x38000000, v0
                                        ; implicit-def: $vgpr6
                                        ; implicit-def: $vgpr5
.LBB0_274:                              ;   in Loop: Header=BB0_115 Depth=3
	s_andn2_saveexec_b64 s[88:89], s[88:89]
; %bb.275:                              ;   in Loop: Header=BB0_115 Depth=3
	v_cmp_gt_i16_sdwa vcc, sext(v5), v43 src0_sel:BYTE_0 src1_sel:DWORD
	v_cndmask_b32_e32 v0, v8, v54, vcc
	v_cmp_eq_u32_e32 vcc, 0, v6
	v_cndmask_b32_e32 v3, v55, v0, vcc
; %bb.276:                              ;   in Loop: Header=BB0_115 Depth=3
	s_or_b64 exec, exec, s[88:89]
.LBB0_277:                              ;   in Loop: Header=BB0_115 Depth=3
	s_or_b64 exec, exec, s[78:79]
.LBB0_278:                              ;   in Loop: Header=BB0_115 Depth=3
	s_or_b64 exec, exec, s[20:21]
	v_max_f32_e32 v0, v3, v3
	v_max_f32_e32 v2, v2, v2
	v_min_f32_e32 v5, v2, v0
.LBB0_279:                              ;   in Loop: Header=BB0_115 Depth=3
	s_or_b64 exec, exec, s[76:77]
	v_and_b32_e32 v27, 0x7f800000, v5
	v_mov_b32_e32 v28, v59
	v_cmp_ne_u64_e32 vcc, s[58:59], v[27:28]
	v_and_b32_e32 v2, 0x7fffff, v5
	v_mov_b32_e32 v3, v59
                                        ; implicit-def: $vgpr23
	s_and_saveexec_b64 s[20:21], vcc
	s_xor_b64 s[76:77], exec, s[20:21]
	s_cbranch_execz .LBB0_293
; %bb.280:                              ;   in Loop: Header=BB0_115 Depth=3
	v_and_b32_e32 v27, 0x7fffffff, v5
	v_mov_b32_e32 v28, v59
	v_cmp_gt_u64_e32 vcc, s[60:61], v[27:28]
	v_and_b32_sdwa v0, v5, s50 dst_sel:DWORD dst_unused:UNUSED_PAD src0_sel:BYTE_3 src1_sel:DWORD
                                        ; implicit-def: $vgpr23
	s_and_saveexec_b64 s[20:21], vcc
	s_xor_b64 s[78:79], exec, s[20:21]
	s_cbranch_execz .LBB0_290
; %bb.281:                              ;   in Loop: Header=BB0_115 Depth=3
	v_mov_b32_e32 v23, 0
	v_cmp_ne_u32_e32 vcc, 0, v5
	s_and_saveexec_b64 s[88:89], vcc
	s_cbranch_execz .LBB0_289
; %bb.282:                              ;   in Loop: Header=BB0_115 Depth=3
	v_bfe_u32 v17, v5, 23, 8
	v_cmp_gt_u32_e64 s[20:21], s51, v17
	v_sub_u32_e32 v5, 0x71, v17
	v_cmp_eq_u32_e32 vcc, 0, v17
	v_cndmask_b32_e64 v5, 0, v5, s[20:21]
	v_cndmask_b32_e32 v20, v5, v25, vcc
	v_or_b32_e32 v6, 0x800000, v2
	v_add_u32_e32 v5, 21, v20
	v_cndmask_b32_e32 v2, v6, v2, vcc
	v_lshlrev_b64 v[5:6], v5, -1
	v_add_u32_e32 v23, 20, v20
	v_bfi_b32 v5, v5, 0, v2
	v_lshlrev_b64 v[27:28], v23, 1
	v_lshrrev_b64 v[2:3], v20, v[2:3]
	v_bfi_b32 v6, v6, 0, 0
	v_cmp_eq_u64_e64 s[20:21], v[5:6], v[27:28]
	v_mov_b32_e32 v6, v3
	v_mov_b32_e32 v5, v2
	s_and_saveexec_b64 s[90:91], s[20:21]
; %bb.283:                              ;   in Loop: Header=BB0_115 Depth=3
	v_bfe_u32 v3, v2, 21, 1
	v_add_co_u32_e64 v3, s[20:21], v2, v3
	v_add_co_u32_e64 v5, s[20:21], -1, v3
; %bb.284:                              ;   in Loop: Header=BB0_115 Depth=3
	s_or_b64 exec, exec, s[90:91]
	v_add_u32_e32 v3, 0xffffff81, v17
	v_cndmask_b32_e32 v3, v3, v48, vcc
	v_lshrrev_b32_e32 v6, 23, v2
	v_add3_u32 v17, v20, v3, v6
	v_add_u32_e32 v6, 14, v17
	v_and_b32_e32 v3, 0x1fffff, v5
	v_add_u32_e32 v2, v3, v2
	v_mov_b32_e32 v3, v59
	v_cmp_ne_u32_e32 vcc, 0, v6
                                        ; implicit-def: $vgpr5
	s_and_saveexec_b64 s[20:21], vcc
	s_xor_b64 s[20:21], exec, s[20:21]
; %bb.285:                              ;   in Loop: Header=BB0_115 Depth=3
	v_cmp_lt_u64_e32 vcc, s[62:63], v[2:3]
	v_add_u32_e32 v5, 15, v17
	v_cndmask_b32_e32 v5, v6, v5, vcc
	v_cndmask_b32_e64 v6, 0, 1, vcc
	v_lshrrev_b64 v[2:3], v6, v[2:3]
; %bb.286:                              ;   in Loop: Header=BB0_115 Depth=3
	s_andn2_saveexec_b64 s[20:21], s[20:21]
; %bb.287:                              ;   in Loop: Header=BB0_115 Depth=3
	v_bfe_u32 v5, v2, 23, 1
; %bb.288:                              ;   in Loop: Header=BB0_115 Depth=3
	s_or_b64 exec, exec, s[20:21]
	v_lshrrev_b64 v[2:3], 21, v[2:3]
	v_cmp_gt_i32_e32 vcc, 32, v5
	v_cndmask_b32_e32 v3, 0, v3, vcc
	v_cndmask_b32_e32 v2, 3, v2, vcc
	v_cmp_eq_u64_e64 s[20:21], 0, v[2:3]
	v_min_i32_e32 v3, 31, v5
	v_lshlrev_b32_e32 v3, 2, v3
	v_cmp_eq_u32_e32 vcc, 0, v5
	v_and_b32_e32 v3, 0xfc, v3
	v_and_or_b32 v2, v2, 3, v3
	s_and_b64 s[20:21], vcc, s[20:21]
	v_cndmask_b32_e64 v2, v2, 0, s[20:21]
	v_or_b32_e32 v23, v2, v0
.LBB0_289:                              ;   in Loop: Header=BB0_115 Depth=3
	s_or_b64 exec, exec, s[88:89]
                                        ; implicit-def: $vgpr0
.LBB0_290:                              ;   in Loop: Header=BB0_115 Depth=3
	s_andn2_saveexec_b64 s[20:21], s[78:79]
; %bb.291:                              ;   in Loop: Header=BB0_115 Depth=3
	v_or_b32_e32 v23, 0x7b, v0
; %bb.292:                              ;   in Loop: Header=BB0_115 Depth=3
	s_or_b64 exec, exec, s[20:21]
                                        ; implicit-def: $vgpr5
                                        ; implicit-def: $vgpr2_vgpr3
.LBB0_293:                              ;   in Loop: Header=BB0_115 Depth=3
	s_andn2_saveexec_b64 s[20:21], s[76:77]
	s_cbranch_execz .LBB0_299
; %bb.294:                              ;   in Loop: Header=BB0_115 Depth=3
	v_cmp_ne_u64_e32 vcc, 0, v[2:3]
                                        ; implicit-def: $vgpr23
	s_and_saveexec_b64 s[76:77], vcc
	s_xor_b64 s[76:77], exec, s[76:77]
; %bb.295:                              ;   in Loop: Header=BB0_115 Depth=3
	v_or_b32_sdwa v23, v5, s52 dst_sel:DWORD dst_unused:UNUSED_PAD src0_sel:BYTE_3 src1_sel:DWORD
                                        ; implicit-def: $vgpr5
; %bb.296:                              ;   in Loop: Header=BB0_115 Depth=3
	s_andn2_saveexec_b64 s[76:77], s[76:77]
; %bb.297:                              ;   in Loop: Header=BB0_115 Depth=3
	v_cmp_lt_i32_e32 vcc, -1, v5
	v_cndmask_b32_e32 v23, v49, v31, vcc
; %bb.298:                              ;   in Loop: Header=BB0_115 Depth=3
	s_or_b64 exec, exec, s[76:77]
.LBB0_299:                              ;   in Loop: Header=BB0_115 Depth=3
	s_or_b64 exec, exec, s[20:21]
	v_lshrrev_b32_e32 v17, 24, v19
	v_lshrrev_b32_e32 v0, 24, v58
	v_cmp_lt_u32_e32 vcc, s57, v19
                                        ; implicit-def: $vgpr2
	s_and_saveexec_b64 s[20:21], s[14:15]
	s_xor_b64 s[76:77], exec, s[20:21]
	s_cbranch_execz .LBB0_317
; %bb.300:                              ;   in Loop: Header=BB0_115 Depth=3
	v_mov_b32_e32 v3, 0
	v_mov_b32_e32 v2, 0
	s_and_saveexec_b64 s[78:79], vcc
	s_cbranch_execz .LBB0_308
; %bb.301:                              ;   in Loop: Header=BB0_115 Depth=3
	v_cmp_ne_u32_e64 s[20:21], s50, v17
	v_bfrev_b32_e32 v2, 1
	s_and_saveexec_b64 s[88:89], s[20:21]
	s_cbranch_execz .LBB0_307
; %bb.302:                              ;   in Loop: Header=BB0_115 Depth=3
	v_and_b32_e32 v2, 0x7c000000, v19
	v_bfe_u32 v5, v19, 24, 2
	v_cmp_ne_u32_e64 s[20:21], s54, v2
                                        ; implicit-def: $vgpr2
	s_and_saveexec_b64 s[90:91], s[20:21]
	s_xor_b64 s[90:91], exec, s[90:91]
	s_cbranch_execz .LBB0_304
; %bb.303:                              ;   in Loop: Header=BB0_115 Depth=3
	v_ffbh_u32_e32 v6, v5
	v_min_u32_e32 v6, 32, v6
	v_subrev_u32_e32 v20, 29, v6
	v_bfe_u32 v2, v19, 26, 5
	v_lshlrev_b64 v[27:28], v20, v[17:18]
	v_sub_u32_e32 v6, 30, v6
	v_cmp_eq_u32_e64 s[20:21], 0, v2
	v_and_b32_e32 v17, 3, v27
	v_cndmask_b32_e64 v2, v2, v6, s[20:21]
	v_and_b32_e32 v6, 0x80000000, v19
	v_cndmask_b32_e64 v5, v5, v17, s[20:21]
	v_lshl_add_u32 v2, v2, 23, v6
	v_lshl_or_b32 v2, v5, 21, v2
	v_add_u32_e32 v2, 0x38000000, v2
                                        ; implicit-def: $vgpr5
.LBB0_304:                              ;   in Loop: Header=BB0_115 Depth=3
	s_andn2_saveexec_b64 s[90:91], s[90:91]
; %bb.305:                              ;   in Loop: Header=BB0_115 Depth=3
	v_cmp_lt_i32_e64 s[20:21], -1, v19
	v_cndmask_b32_e64 v2, v8, v54, s[20:21]
	v_cmp_eq_u32_e64 s[20:21], 0, v5
	v_cndmask_b32_e64 v2, v55, v2, s[20:21]
; %bb.306:                              ;   in Loop: Header=BB0_115 Depth=3
	s_or_b64 exec, exec, s[90:91]
.LBB0_307:                              ;   in Loop: Header=BB0_115 Depth=3
	s_or_b64 exec, exec, s[88:89]
.LBB0_308:                              ;   in Loop: Header=BB0_115 Depth=3
	s_or_b64 exec, exec, s[78:79]
	v_cmp_lt_u32_e64 s[20:21], s57, v58
	s_and_saveexec_b64 s[78:79], s[20:21]
	s_cbranch_execz .LBB0_316
; %bb.309:                              ;   in Loop: Header=BB0_115 Depth=3
	v_cmp_ne_u32_e64 s[20:21], s50, v0
	v_bfrev_b32_e32 v3, 1
	s_and_saveexec_b64 s[88:89], s[20:21]
	s_cbranch_execz .LBB0_315
; %bb.310:                              ;   in Loop: Header=BB0_115 Depth=3
	v_and_b32_e32 v3, 0x7c000000, v58
	v_bfe_u32 v5, v58, 24, 2
	v_cmp_ne_u32_e64 s[20:21], s54, v3
                                        ; implicit-def: $vgpr3
	s_and_saveexec_b64 s[90:91], s[20:21]
	s_xor_b64 s[90:91], exec, s[90:91]
	s_cbranch_execz .LBB0_312
; %bb.311:                              ;   in Loop: Header=BB0_115 Depth=3
	v_ffbh_u32_e32 v6, v5
	v_min_u32_e32 v6, 32, v6
	v_subrev_u32_e32 v17, 29, v6
	v_lshlrev_b64 v[19:20], v17, v[0:1]
	v_bfe_u32 v3, v58, 26, 5
	v_sub_u32_e32 v0, 30, v6
	v_and_b32_e32 v6, 3, v19
	v_cmp_eq_u32_e64 s[20:21], 0, v3
	v_cndmask_b32_e64 v0, v3, v0, s[20:21]
	v_cndmask_b32_e64 v3, v5, v6, s[20:21]
	v_and_b32_e32 v5, 0x80000000, v58
	v_lshl_add_u32 v0, v0, 23, v5
	v_lshl_or_b32 v0, v3, 21, v0
	v_add_u32_e32 v3, 0x38000000, v0
                                        ; implicit-def: $vgpr5
.LBB0_312:                              ;   in Loop: Header=BB0_115 Depth=3
	s_andn2_saveexec_b64 s[90:91], s[90:91]
; %bb.313:                              ;   in Loop: Header=BB0_115 Depth=3
	v_cmp_lt_i32_e64 s[20:21], -1, v58
	v_cndmask_b32_e64 v0, v8, v54, s[20:21]
	v_cmp_eq_u32_e64 s[20:21], 0, v5
	v_cndmask_b32_e64 v3, v55, v0, s[20:21]
; %bb.314:                              ;   in Loop: Header=BB0_115 Depth=3
	s_or_b64 exec, exec, s[90:91]
.LBB0_315:                              ;   in Loop: Header=BB0_115 Depth=3
	s_or_b64 exec, exec, s[88:89]
.LBB0_316:                              ;   in Loop: Header=BB0_115 Depth=3
	s_or_b64 exec, exec, s[78:79]
	v_max_f32_e32 v0, v3, v3
	v_max_f32_e32 v2, v2, v2
	;; [unrolled: 1-line block ×3, first 2 shown]
                                        ; implicit-def: $vgpr0
                                        ; implicit-def: $vgpr17
.LBB0_317:                              ;   in Loop: Header=BB0_115 Depth=3
	s_andn2_saveexec_b64 s[20:21], s[76:77]
	s_cbranch_execz .LBB0_335
; %bb.318:                              ;   in Loop: Header=BB0_115 Depth=3
	v_mov_b32_e32 v3, 0
	v_mov_b32_e32 v2, 0
	s_and_saveexec_b64 s[76:77], vcc
	s_cbranch_execz .LBB0_326
; %bb.319:                              ;   in Loop: Header=BB0_115 Depth=3
	v_cmp_ne_u32_e32 vcc, s50, v17
	v_bfrev_b32_e32 v2, 1
	s_and_saveexec_b64 s[78:79], vcc
	s_cbranch_execz .LBB0_325
; %bb.320:                              ;   in Loop: Header=BB0_115 Depth=3
	v_and_b32_e32 v2, 0x7c000000, v19
	v_bfe_u32 v5, v19, 24, 2
	v_cmp_ne_u32_e32 vcc, s54, v2
                                        ; implicit-def: $vgpr2
	s_and_saveexec_b64 s[88:89], vcc
	s_xor_b64 s[88:89], exec, s[88:89]
	s_cbranch_execz .LBB0_322
; %bb.321:                              ;   in Loop: Header=BB0_115 Depth=3
	v_ffbh_u32_e32 v6, v5
	v_min_u32_e32 v6, 32, v6
	v_subrev_u32_e32 v20, 29, v6
	v_bfe_u32 v2, v19, 26, 5
	v_lshlrev_b64 v[27:28], v20, v[17:18]
	v_sub_u32_e32 v6, 30, v6
	v_cmp_eq_u32_e32 vcc, 0, v2
	v_and_b32_e32 v17, 3, v27
	v_cndmask_b32_e32 v2, v2, v6, vcc
	v_and_b32_e32 v6, 0x80000000, v19
	v_cndmask_b32_e32 v5, v5, v17, vcc
	v_lshl_add_u32 v2, v2, 23, v6
	v_lshl_or_b32 v2, v5, 21, v2
	v_add_u32_e32 v2, 0x38000000, v2
                                        ; implicit-def: $vgpr5
.LBB0_322:                              ;   in Loop: Header=BB0_115 Depth=3
	s_andn2_saveexec_b64 s[88:89], s[88:89]
; %bb.323:                              ;   in Loop: Header=BB0_115 Depth=3
	v_cmp_lt_i32_e32 vcc, -1, v19
	v_cndmask_b32_e32 v2, v8, v54, vcc
	v_cmp_eq_u32_e32 vcc, 0, v5
	v_cndmask_b32_e32 v2, v55, v2, vcc
; %bb.324:                              ;   in Loop: Header=BB0_115 Depth=3
	s_or_b64 exec, exec, s[88:89]
.LBB0_325:                              ;   in Loop: Header=BB0_115 Depth=3
	s_or_b64 exec, exec, s[78:79]
.LBB0_326:                              ;   in Loop: Header=BB0_115 Depth=3
	s_or_b64 exec, exec, s[76:77]
	v_cmp_lt_u32_e32 vcc, s57, v58
	s_and_saveexec_b64 s[76:77], vcc
	s_cbranch_execz .LBB0_334
; %bb.327:                              ;   in Loop: Header=BB0_115 Depth=3
	v_cmp_ne_u32_e32 vcc, s50, v0
	v_bfrev_b32_e32 v3, 1
	s_and_saveexec_b64 s[78:79], vcc
	s_cbranch_execz .LBB0_333
; %bb.328:                              ;   in Loop: Header=BB0_115 Depth=3
	v_and_b32_e32 v3, 0x7c000000, v58
	v_bfe_u32 v5, v58, 24, 2
	v_cmp_ne_u32_e32 vcc, s54, v3
                                        ; implicit-def: $vgpr3
	s_and_saveexec_b64 s[88:89], vcc
	s_xor_b64 s[88:89], exec, s[88:89]
	s_cbranch_execz .LBB0_330
; %bb.329:                              ;   in Loop: Header=BB0_115 Depth=3
	v_ffbh_u32_e32 v6, v5
	v_min_u32_e32 v6, 32, v6
	v_subrev_u32_e32 v17, 29, v6
	v_lshlrev_b64 v[19:20], v17, v[0:1]
	v_bfe_u32 v3, v58, 26, 5
	v_sub_u32_e32 v0, 30, v6
	v_and_b32_e32 v6, 3, v19
	v_cmp_eq_u32_e32 vcc, 0, v3
	v_cndmask_b32_e32 v0, v3, v0, vcc
	v_cndmask_b32_e32 v3, v5, v6, vcc
	v_and_b32_e32 v5, 0x80000000, v58
	v_lshl_add_u32 v0, v0, 23, v5
	v_lshl_or_b32 v0, v3, 21, v0
	v_add_u32_e32 v3, 0x38000000, v0
                                        ; implicit-def: $vgpr5
.LBB0_330:                              ;   in Loop: Header=BB0_115 Depth=3
	s_andn2_saveexec_b64 s[88:89], s[88:89]
; %bb.331:                              ;   in Loop: Header=BB0_115 Depth=3
	v_cmp_lt_i32_e32 vcc, -1, v58
	v_cndmask_b32_e32 v0, v8, v54, vcc
	v_cmp_eq_u32_e32 vcc, 0, v5
	v_cndmask_b32_e32 v3, v55, v0, vcc
; %bb.332:                              ;   in Loop: Header=BB0_115 Depth=3
	s_or_b64 exec, exec, s[88:89]
.LBB0_333:                              ;   in Loop: Header=BB0_115 Depth=3
	s_or_b64 exec, exec, s[78:79]
.LBB0_334:                              ;   in Loop: Header=BB0_115 Depth=3
	s_or_b64 exec, exec, s[76:77]
	v_max_f32_e32 v0, v3, v3
	v_max_f32_e32 v2, v2, v2
	v_min_f32_e32 v2, v2, v0
.LBB0_335:                              ;   in Loop: Header=BB0_115 Depth=3
	s_or_b64 exec, exec, s[20:21]
	v_and_b32_e32 v5, 0x7f800000, v2
	v_mov_b32_e32 v6, v59
	v_cmp_ne_u64_e32 vcc, s[58:59], v[5:6]
	v_and_b32_e32 v58, 0x7fffff, v2
                                        ; implicit-def: $vgpr37
	s_and_saveexec_b64 s[20:21], vcc
	s_xor_b64 s[76:77], exec, s[20:21]
	s_cbranch_execz .LBB0_349
; %bb.336:                              ;   in Loop: Header=BB0_115 Depth=3
	v_and_b32_e32 v5, 0x7fffffff, v2
	v_mov_b32_e32 v6, v59
	v_cmp_gt_u64_e32 vcc, s[60:61], v[5:6]
	v_and_b32_sdwa v0, v2, s50 dst_sel:DWORD dst_unused:UNUSED_PAD src0_sel:BYTE_3 src1_sel:DWORD
                                        ; implicit-def: $vgpr37
	s_and_saveexec_b64 s[20:21], vcc
	s_xor_b64 s[78:79], exec, s[20:21]
	s_cbranch_execz .LBB0_346
; %bb.337:                              ;   in Loop: Header=BB0_115 Depth=3
	v_mov_b32_e32 v37, 0
	v_cmp_ne_u32_e32 vcc, 0, v2
	s_and_saveexec_b64 s[88:89], vcc
	s_cbranch_execz .LBB0_345
; %bb.338:                              ;   in Loop: Header=BB0_115 Depth=3
	v_bfe_u32 v17, v2, 23, 8
	v_cmp_gt_u32_e64 s[20:21], s51, v17
	v_sub_u32_e32 v2, 0x71, v17
	v_cmp_eq_u32_e32 vcc, 0, v17
	v_cndmask_b32_e64 v2, 0, v2, s[20:21]
	v_cndmask_b32_e32 v19, v2, v25, vcc
	v_or_b32_e32 v3, 0x800000, v58
	v_add_u32_e32 v2, 21, v19
	v_cndmask_b32_e32 v58, v3, v58, vcc
	v_lshlrev_b64 v[2:3], v2, -1
	v_add_u32_e32 v5, 20, v19
	v_lshlrev_b64 v[5:6], v5, 1
	v_bfi_b32 v3, v3, 0, 0
	v_bfi_b32 v2, v2, 0, v58
	v_cmp_eq_u64_e64 s[20:21], v[2:3], v[5:6]
	v_lshrrev_b64 v[2:3], v19, v[58:59]
	v_mov_b32_e32 v6, v3
	v_mov_b32_e32 v5, v2
	s_and_saveexec_b64 s[90:91], s[20:21]
; %bb.339:                              ;   in Loop: Header=BB0_115 Depth=3
	v_bfe_u32 v3, v2, 21, 1
	v_add_co_u32_e64 v3, s[20:21], v2, v3
	v_add_co_u32_e64 v5, s[20:21], -1, v3
; %bb.340:                              ;   in Loop: Header=BB0_115 Depth=3
	s_or_b64 exec, exec, s[90:91]
	v_add_u32_e32 v3, 0xffffff81, v17
	v_cndmask_b32_e32 v3, v3, v48, vcc
	v_lshrrev_b32_e32 v6, 23, v2
	v_add3_u32 v17, v19, v3, v6
	v_add_u32_e32 v6, 14, v17
	v_and_b32_e32 v3, 0x1fffff, v5
	v_add_u32_e32 v58, v3, v2
	v_cmp_ne_u32_e32 vcc, 0, v6
                                        ; implicit-def: $vgpr2_vgpr3
                                        ; implicit-def: $vgpr5
	s_and_saveexec_b64 s[20:21], vcc
	s_xor_b64 s[20:21], exec, s[20:21]
; %bb.341:                              ;   in Loop: Header=BB0_115 Depth=3
	v_cmp_lt_u64_e32 vcc, s[62:63], v[58:59]
	v_add_u32_e32 v2, 15, v17
	v_cndmask_b32_e32 v5, v6, v2, vcc
	v_cndmask_b32_e64 v2, 0, 1, vcc
	v_lshrrev_b64 v[2:3], v2, v[58:59]
; %bb.342:                              ;   in Loop: Header=BB0_115 Depth=3
	s_andn2_saveexec_b64 s[20:21], s[20:21]
; %bb.343:                              ;   in Loop: Header=BB0_115 Depth=3
	v_mov_b32_e32 v2, v58
	v_bfe_u32 v5, v58, 23, 1
	v_mov_b32_e32 v3, v59
; %bb.344:                              ;   in Loop: Header=BB0_115 Depth=3
	s_or_b64 exec, exec, s[20:21]
	v_lshrrev_b64 v[2:3], 21, v[2:3]
	v_cmp_gt_i32_e32 vcc, 32, v5
	v_cndmask_b32_e32 v3, 0, v3, vcc
	v_cndmask_b32_e32 v2, 3, v2, vcc
	v_cmp_eq_u64_e64 s[20:21], 0, v[2:3]
	v_min_i32_e32 v3, 31, v5
	v_lshlrev_b32_e32 v3, 2, v3
	v_cmp_eq_u32_e32 vcc, 0, v5
	v_and_b32_e32 v3, 0xfc, v3
	v_and_or_b32 v2, v2, 3, v3
	s_and_b64 s[20:21], vcc, s[20:21]
	v_cndmask_b32_e64 v2, v2, 0, s[20:21]
	v_or_b32_e32 v37, v2, v0
.LBB0_345:                              ;   in Loop: Header=BB0_115 Depth=3
	s_or_b64 exec, exec, s[88:89]
                                        ; implicit-def: $vgpr0
.LBB0_346:                              ;   in Loop: Header=BB0_115 Depth=3
	s_andn2_saveexec_b64 s[20:21], s[78:79]
; %bb.347:                              ;   in Loop: Header=BB0_115 Depth=3
	v_or_b32_e32 v37, 0x7b, v0
; %bb.348:                              ;   in Loop: Header=BB0_115 Depth=3
	s_or_b64 exec, exec, s[20:21]
                                        ; implicit-def: $vgpr2
.LBB0_349:                              ;   in Loop: Header=BB0_115 Depth=3
	s_andn2_saveexec_b64 s[20:21], s[76:77]
	s_cbranch_execz .LBB0_355
; %bb.350:                              ;   in Loop: Header=BB0_115 Depth=3
	v_cmp_ne_u64_e32 vcc, 0, v[58:59]
                                        ; implicit-def: $vgpr37
	s_and_saveexec_b64 s[76:77], vcc
	s_xor_b64 s[76:77], exec, s[76:77]
; %bb.351:                              ;   in Loop: Header=BB0_115 Depth=3
	v_or_b32_sdwa v37, v2, s52 dst_sel:DWORD dst_unused:UNUSED_PAD src0_sel:BYTE_3 src1_sel:DWORD
                                        ; implicit-def: $vgpr2
; %bb.352:                              ;   in Loop: Header=BB0_115 Depth=3
	s_andn2_saveexec_b64 s[76:77], s[76:77]
; %bb.353:                              ;   in Loop: Header=BB0_115 Depth=3
	v_cmp_lt_i32_e32 vcc, -1, v2
	v_cndmask_b32_e32 v37, v49, v31, vcc
; %bb.354:                              ;   in Loop: Header=BB0_115 Depth=3
	s_or_b64 exec, exec, s[76:77]
.LBB0_355:                              ;   in Loop: Header=BB0_115 Depth=3
	s_or_b64 exec, exec, s[20:21]
	v_alignbit_b32 v58, v24, v36, v38
	v_cmp_ne_u16_sdwa s[20:21], v21, v59 src0_sel:BYTE_0 src1_sel:DWORD
                                        ; implicit-def: $vgpr5
	s_and_saveexec_b64 s[76:77], s[14:15]
	s_xor_b64 s[76:77], exec, s[76:77]
	s_cbranch_execz .LBB0_373
; %bb.356:                              ;   in Loop: Header=BB0_115 Depth=3
	v_mov_b32_e32 v2, 0
	v_mov_b32_e32 v0, 0
	s_and_saveexec_b64 s[78:79], s[20:21]
	s_cbranch_execz .LBB0_364
; %bb.357:                              ;   in Loop: Header=BB0_115 Depth=3
	v_cmp_ne_u16_sdwa s[90:91], sext(v21), s48 src0_sel:BYTE_0 src1_sel:DWORD
	v_bfrev_b32_e32 v0, 1
	s_and_saveexec_b64 s[88:89], s[90:91]
	s_cbranch_execz .LBB0_363
; %bb.358:                              ;   in Loop: Header=BB0_115 Depth=3
	v_and_b32_e32 v0, 0x7c, v21
	v_and_b32_e32 v3, 3, v21
	v_cmp_ne_u32_e32 vcc, s49, v0
                                        ; implicit-def: $vgpr0
	s_and_saveexec_b64 s[90:91], vcc
	s_xor_b64 s[90:91], exec, s[90:91]
	s_cbranch_execz .LBB0_360
; %bb.359:                              ;   in Loop: Header=BB0_115 Depth=3
	v_ffbh_u32_e32 v5, v3
	v_min_u32_e32 v17, 32, v5
	v_subrev_u32_e32 v5, 29, v17
	v_lshlrev_b64 v[5:6], v5, v[21:22]
	v_bfe_u32 v0, v21, 2, 5
	v_and_b32_e32 v5, 3, v5
	v_cmp_eq_u32_e32 vcc, 0, v0
	v_sub_u32_e32 v6, 30, v17
	v_cndmask_b32_e32 v3, v3, v5, vcc
	v_lshlrev_b32_e32 v5, 24, v21
	v_cndmask_b32_e32 v0, v0, v6, vcc
	v_and_b32_e32 v5, 0x80000000, v5
	v_lshl_add_u32 v0, v0, 23, v5
	v_lshl_or_b32 v0, v3, 21, v0
	v_add_u32_e32 v0, 0x38000000, v0
                                        ; implicit-def: $vgpr3
.LBB0_360:                              ;   in Loop: Header=BB0_115 Depth=3
	s_andn2_saveexec_b64 s[90:91], s[90:91]
; %bb.361:                              ;   in Loop: Header=BB0_115 Depth=3
	v_cmp_gt_i16_sdwa vcc, sext(v21), v43 src0_sel:BYTE_0 src1_sel:DWORD
	v_cndmask_b32_e32 v0, v8, v54, vcc
	v_cmp_eq_u32_e32 vcc, 0, v3
	v_cndmask_b32_e32 v0, v55, v0, vcc
; %bb.362:                              ;   in Loop: Header=BB0_115 Depth=3
	s_or_b64 exec, exec, s[90:91]
.LBB0_363:                              ;   in Loop: Header=BB0_115 Depth=3
	s_or_b64 exec, exec, s[88:89]
.LBB0_364:                              ;   in Loop: Header=BB0_115 Depth=3
	s_or_b64 exec, exec, s[78:79]
	v_cmp_ne_u16_sdwa s[88:89], sext(v58), v59 src0_sel:BYTE_0 src1_sel:DWORD
	s_and_saveexec_b64 s[78:79], s[88:89]
	s_cbranch_execz .LBB0_372
; %bb.365:                              ;   in Loop: Header=BB0_115 Depth=3
	v_cmp_ne_u16_sdwa s[90:91], sext(v58), s48 src0_sel:BYTE_0 src1_sel:DWORD
	v_bfrev_b32_e32 v2, 1
	s_and_saveexec_b64 s[88:89], s[90:91]
	s_cbranch_execz .LBB0_371
; %bb.366:                              ;   in Loop: Header=BB0_115 Depth=3
	v_and_b32_e32 v2, 0x7c, v58
	v_and_b32_e32 v3, 3, v58
	v_cmp_ne_u32_e32 vcc, s49, v2
                                        ; implicit-def: $vgpr2
	s_and_saveexec_b64 s[90:91], vcc
	s_xor_b64 s[90:91], exec, s[90:91]
	s_cbranch_execz .LBB0_368
; %bb.367:                              ;   in Loop: Header=BB0_115 Depth=3
	v_ffbh_u32_e32 v5, v3
	v_min_u32_e32 v17, 32, v5
	v_subrev_u32_e32 v5, 29, v17
	v_lshlrev_b64 v[5:6], v5, v[58:59]
	v_bfe_u32 v2, v58, 2, 5
	v_and_b32_e32 v5, 3, v5
	v_cmp_eq_u32_e32 vcc, 0, v2
	v_sub_u32_e32 v6, 30, v17
	v_cndmask_b32_e32 v3, v3, v5, vcc
	v_lshlrev_b32_e32 v5, 24, v58
	v_cndmask_b32_e32 v2, v2, v6, vcc
	v_and_b32_e32 v5, 0x80000000, v5
	v_lshl_add_u32 v2, v2, 23, v5
	v_lshl_or_b32 v2, v3, 21, v2
	v_add_u32_e32 v2, 0x38000000, v2
                                        ; implicit-def: $vgpr3
.LBB0_368:                              ;   in Loop: Header=BB0_115 Depth=3
	s_andn2_saveexec_b64 s[90:91], s[90:91]
; %bb.369:                              ;   in Loop: Header=BB0_115 Depth=3
	v_cmp_gt_i16_sdwa vcc, sext(v58), v43 src0_sel:BYTE_0 src1_sel:DWORD
	v_cndmask_b32_e32 v2, v8, v54, vcc
	v_cmp_eq_u32_e32 vcc, 0, v3
	v_cndmask_b32_e32 v2, v55, v2, vcc
; %bb.370:                              ;   in Loop: Header=BB0_115 Depth=3
	s_or_b64 exec, exec, s[90:91]
.LBB0_371:                              ;   in Loop: Header=BB0_115 Depth=3
	s_or_b64 exec, exec, s[88:89]
.LBB0_372:                              ;   in Loop: Header=BB0_115 Depth=3
	s_or_b64 exec, exec, s[78:79]
	v_max_f32_e32 v2, v2, v2
	v_max_f32_e32 v0, v0, v0
	v_max_f32_e32 v5, v0, v2
.LBB0_373:                              ;   in Loop: Header=BB0_115 Depth=3
	s_andn2_saveexec_b64 s[76:77], s[76:77]
	s_cbranch_execz .LBB0_391
; %bb.374:                              ;   in Loop: Header=BB0_115 Depth=3
	v_mov_b32_e32 v2, 0
	v_mov_b32_e32 v0, 0
	s_and_saveexec_b64 s[78:79], s[20:21]
	s_cbranch_execz .LBB0_382
; %bb.375:                              ;   in Loop: Header=BB0_115 Depth=3
	v_cmp_ne_u16_sdwa s[88:89], sext(v21), s48 src0_sel:BYTE_0 src1_sel:DWORD
	v_bfrev_b32_e32 v0, 1
	s_and_saveexec_b64 s[20:21], s[88:89]
	s_cbranch_execz .LBB0_381
; %bb.376:                              ;   in Loop: Header=BB0_115 Depth=3
	v_and_b32_e32 v0, 0x7c, v21
	v_and_b32_e32 v3, 3, v21
	v_cmp_ne_u32_e32 vcc, s49, v0
                                        ; implicit-def: $vgpr0
	s_and_saveexec_b64 s[88:89], vcc
	s_xor_b64 s[88:89], exec, s[88:89]
	s_cbranch_execz .LBB0_378
; %bb.377:                              ;   in Loop: Header=BB0_115 Depth=3
	v_ffbh_u32_e32 v5, v3
	v_min_u32_e32 v17, 32, v5
	v_subrev_u32_e32 v5, 29, v17
	v_lshlrev_b64 v[5:6], v5, v[21:22]
	v_bfe_u32 v0, v21, 2, 5
	v_and_b32_e32 v5, 3, v5
	v_cmp_eq_u32_e32 vcc, 0, v0
	v_sub_u32_e32 v6, 30, v17
	v_cndmask_b32_e32 v3, v3, v5, vcc
	v_lshlrev_b32_e32 v5, 24, v21
	v_cndmask_b32_e32 v0, v0, v6, vcc
	v_and_b32_e32 v5, 0x80000000, v5
	v_lshl_add_u32 v0, v0, 23, v5
	v_lshl_or_b32 v0, v3, 21, v0
	v_add_u32_e32 v0, 0x38000000, v0
                                        ; implicit-def: $vgpr3
.LBB0_378:                              ;   in Loop: Header=BB0_115 Depth=3
	s_andn2_saveexec_b64 s[88:89], s[88:89]
; %bb.379:                              ;   in Loop: Header=BB0_115 Depth=3
	v_cmp_gt_i16_sdwa vcc, sext(v21), v43 src0_sel:BYTE_0 src1_sel:DWORD
	v_cndmask_b32_e32 v0, v8, v54, vcc
	v_cmp_eq_u32_e32 vcc, 0, v3
	v_cndmask_b32_e32 v0, v55, v0, vcc
; %bb.380:                              ;   in Loop: Header=BB0_115 Depth=3
	s_or_b64 exec, exec, s[88:89]
.LBB0_381:                              ;   in Loop: Header=BB0_115 Depth=3
	s_or_b64 exec, exec, s[20:21]
.LBB0_382:                              ;   in Loop: Header=BB0_115 Depth=3
	s_or_b64 exec, exec, s[78:79]
	v_cmp_ne_u16_sdwa s[78:79], sext(v58), v59 src0_sel:BYTE_0 src1_sel:DWORD
	s_and_saveexec_b64 s[20:21], s[78:79]
	s_cbranch_execz .LBB0_390
; %bb.383:                              ;   in Loop: Header=BB0_115 Depth=3
	v_cmp_ne_u16_sdwa s[88:89], sext(v58), s48 src0_sel:BYTE_0 src1_sel:DWORD
	v_bfrev_b32_e32 v2, 1
	s_and_saveexec_b64 s[78:79], s[88:89]
	s_cbranch_execz .LBB0_389
; %bb.384:                              ;   in Loop: Header=BB0_115 Depth=3
	v_and_b32_e32 v2, 0x7c, v58
	v_and_b32_e32 v3, 3, v58
	v_cmp_ne_u32_e32 vcc, s49, v2
                                        ; implicit-def: $vgpr2
	s_and_saveexec_b64 s[88:89], vcc
	s_xor_b64 s[88:89], exec, s[88:89]
	s_cbranch_execz .LBB0_386
; %bb.385:                              ;   in Loop: Header=BB0_115 Depth=3
	v_ffbh_u32_e32 v5, v3
	v_min_u32_e32 v17, 32, v5
	v_subrev_u32_e32 v5, 29, v17
	v_lshlrev_b64 v[5:6], v5, v[58:59]
	v_bfe_u32 v2, v58, 2, 5
	v_and_b32_e32 v5, 3, v5
	v_cmp_eq_u32_e32 vcc, 0, v2
	v_sub_u32_e32 v6, 30, v17
	v_cndmask_b32_e32 v3, v3, v5, vcc
	v_lshlrev_b32_e32 v5, 24, v58
	v_cndmask_b32_e32 v2, v2, v6, vcc
	v_and_b32_e32 v5, 0x80000000, v5
	v_lshl_add_u32 v2, v2, 23, v5
	v_lshl_or_b32 v2, v3, 21, v2
	v_add_u32_e32 v2, 0x38000000, v2
                                        ; implicit-def: $vgpr3
.LBB0_386:                              ;   in Loop: Header=BB0_115 Depth=3
	s_andn2_saveexec_b64 s[88:89], s[88:89]
; %bb.387:                              ;   in Loop: Header=BB0_115 Depth=3
	v_cmp_gt_i16_sdwa vcc, sext(v58), v43 src0_sel:BYTE_0 src1_sel:DWORD
	v_cndmask_b32_e32 v2, v8, v54, vcc
	v_cmp_eq_u32_e32 vcc, 0, v3
	v_cndmask_b32_e32 v2, v55, v2, vcc
; %bb.388:                              ;   in Loop: Header=BB0_115 Depth=3
	s_or_b64 exec, exec, s[88:89]
.LBB0_389:                              ;   in Loop: Header=BB0_115 Depth=3
	s_or_b64 exec, exec, s[78:79]
.LBB0_390:                              ;   in Loop: Header=BB0_115 Depth=3
	s_or_b64 exec, exec, s[20:21]
	v_max_f32_e32 v2, v2, v2
	v_max_f32_e32 v0, v0, v0
	v_min_f32_e32 v5, v0, v2
.LBB0_391:                              ;   in Loop: Header=BB0_115 Depth=3
	s_or_b64 exec, exec, s[76:77]
	v_and_b32_e32 v19, 0x7f800000, v5
	v_mov_b32_e32 v20, v59
	v_cmp_ne_u64_e32 vcc, s[58:59], v[19:20]
	v_and_b32_e32 v2, 0x7fffff, v5
	v_mov_b32_e32 v3, v59
                                        ; implicit-def: $vgpr22
	s_and_saveexec_b64 s[20:21], vcc
	s_xor_b64 s[76:77], exec, s[20:21]
	s_cbranch_execz .LBB0_405
; %bb.392:                              ;   in Loop: Header=BB0_115 Depth=3
	v_and_b32_e32 v19, 0x7fffffff, v5
	v_mov_b32_e32 v20, v59
	v_cmp_gt_u64_e32 vcc, s[60:61], v[19:20]
	v_and_b32_sdwa v0, v5, s50 dst_sel:DWORD dst_unused:UNUSED_PAD src0_sel:BYTE_3 src1_sel:DWORD
                                        ; implicit-def: $vgpr22
	s_and_saveexec_b64 s[20:21], vcc
	s_xor_b64 s[78:79], exec, s[20:21]
	s_cbranch_execz .LBB0_402
; %bb.393:                              ;   in Loop: Header=BB0_115 Depth=3
	v_mov_b32_e32 v22, 0
	v_cmp_ne_u32_e32 vcc, 0, v5
	s_and_saveexec_b64 s[88:89], vcc
	s_cbranch_execz .LBB0_401
; %bb.394:                              ;   in Loop: Header=BB0_115 Depth=3
	v_bfe_u32 v17, v5, 23, 8
	v_cmp_gt_u32_e64 s[20:21], s51, v17
	v_sub_u32_e32 v5, 0x71, v17
	v_cmp_eq_u32_e32 vcc, 0, v17
	v_cndmask_b32_e64 v5, 0, v5, s[20:21]
	v_cndmask_b32_e32 v19, v5, v25, vcc
	v_or_b32_e32 v6, 0x800000, v2
	v_add_u32_e32 v5, 21, v19
	v_cndmask_b32_e32 v2, v6, v2, vcc
	v_lshlrev_b64 v[5:6], v5, -1
	v_add_u32_e32 v20, 20, v19
	v_bfi_b32 v5, v5, 0, v2
	v_lshlrev_b64 v[27:28], v20, 1
	v_lshrrev_b64 v[2:3], v19, v[2:3]
	v_bfi_b32 v6, v6, 0, 0
	v_cmp_eq_u64_e64 s[20:21], v[5:6], v[27:28]
	v_mov_b32_e32 v6, v3
	v_mov_b32_e32 v5, v2
	s_and_saveexec_b64 s[90:91], s[20:21]
; %bb.395:                              ;   in Loop: Header=BB0_115 Depth=3
	v_bfe_u32 v3, v2, 21, 1
	v_add_co_u32_e64 v3, s[20:21], v2, v3
	v_add_co_u32_e64 v5, s[20:21], -1, v3
; %bb.396:                              ;   in Loop: Header=BB0_115 Depth=3
	s_or_b64 exec, exec, s[90:91]
	v_add_u32_e32 v3, 0xffffff81, v17
	v_cndmask_b32_e32 v3, v3, v48, vcc
	v_lshrrev_b32_e32 v6, 23, v2
	v_add3_u32 v17, v19, v3, v6
	v_add_u32_e32 v6, 14, v17
	v_and_b32_e32 v3, 0x1fffff, v5
	v_add_u32_e32 v2, v3, v2
	v_mov_b32_e32 v3, v59
	v_cmp_ne_u32_e32 vcc, 0, v6
                                        ; implicit-def: $vgpr5
	s_and_saveexec_b64 s[20:21], vcc
	s_xor_b64 s[20:21], exec, s[20:21]
; %bb.397:                              ;   in Loop: Header=BB0_115 Depth=3
	v_cmp_lt_u64_e32 vcc, s[62:63], v[2:3]
	v_add_u32_e32 v5, 15, v17
	v_cndmask_b32_e32 v5, v6, v5, vcc
	v_cndmask_b32_e64 v6, 0, 1, vcc
	v_lshrrev_b64 v[2:3], v6, v[2:3]
; %bb.398:                              ;   in Loop: Header=BB0_115 Depth=3
	s_andn2_saveexec_b64 s[20:21], s[20:21]
; %bb.399:                              ;   in Loop: Header=BB0_115 Depth=3
	v_bfe_u32 v5, v2, 23, 1
; %bb.400:                              ;   in Loop: Header=BB0_115 Depth=3
	s_or_b64 exec, exec, s[20:21]
	v_lshrrev_b64 v[2:3], 21, v[2:3]
	v_cmp_gt_i32_e32 vcc, 32, v5
	v_cndmask_b32_e32 v3, 0, v3, vcc
	v_cndmask_b32_e32 v2, 3, v2, vcc
	v_cmp_eq_u64_e64 s[20:21], 0, v[2:3]
	v_min_i32_e32 v3, 31, v5
	v_lshlrev_b32_e32 v3, 2, v3
	v_cmp_eq_u32_e32 vcc, 0, v5
	v_and_b32_e32 v3, 0xfc, v3
	v_and_or_b32 v2, v2, 3, v3
	s_and_b64 s[20:21], vcc, s[20:21]
	v_cndmask_b32_e64 v2, v2, 0, s[20:21]
	v_or_b32_e32 v22, v2, v0
.LBB0_401:                              ;   in Loop: Header=BB0_115 Depth=3
	s_or_b64 exec, exec, s[88:89]
                                        ; implicit-def: $vgpr0
.LBB0_402:                              ;   in Loop: Header=BB0_115 Depth=3
	s_andn2_saveexec_b64 s[20:21], s[78:79]
; %bb.403:                              ;   in Loop: Header=BB0_115 Depth=3
	v_or_b32_e32 v22, 0x7b, v0
; %bb.404:                              ;   in Loop: Header=BB0_115 Depth=3
	s_or_b64 exec, exec, s[20:21]
                                        ; implicit-def: $vgpr5
                                        ; implicit-def: $vgpr2_vgpr3
.LBB0_405:                              ;   in Loop: Header=BB0_115 Depth=3
	s_andn2_saveexec_b64 s[20:21], s[76:77]
	s_cbranch_execz .LBB0_411
; %bb.406:                              ;   in Loop: Header=BB0_115 Depth=3
	v_cmp_ne_u64_e32 vcc, 0, v[2:3]
                                        ; implicit-def: $vgpr22
	s_and_saveexec_b64 s[76:77], vcc
	s_xor_b64 s[76:77], exec, s[76:77]
; %bb.407:                              ;   in Loop: Header=BB0_115 Depth=3
	v_or_b32_sdwa v22, v5, s52 dst_sel:DWORD dst_unused:UNUSED_PAD src0_sel:BYTE_3 src1_sel:DWORD
                                        ; implicit-def: $vgpr5
; %bb.408:                              ;   in Loop: Header=BB0_115 Depth=3
	s_andn2_saveexec_b64 s[76:77], s[76:77]
; %bb.409:                              ;   in Loop: Header=BB0_115 Depth=3
	v_cmp_lt_i32_e32 vcc, -1, v5
	v_cndmask_b32_e32 v22, v49, v31, vcc
; %bb.410:                              ;   in Loop: Header=BB0_115 Depth=3
	s_or_b64 exec, exec, s[76:77]
.LBB0_411:                              ;   in Loop: Header=BB0_115 Depth=3
	s_or_b64 exec, exec, s[20:21]
	v_lshrrev_b16_e32 v2, 8, v21
	v_lshrrev_b16_e32 v19, 8, v58
	v_cmp_ne_u16_e32 vcc, 0, v2
                                        ; implicit-def: $vgpr5
	s_and_saveexec_b64 s[20:21], s[14:15]
	s_xor_b64 s[76:77], exec, s[20:21]
	s_cbranch_execz .LBB0_429
; %bb.412:                              ;   in Loop: Header=BB0_115 Depth=3
	v_mov_b32_e32 v5, 0
	v_mov_b32_e32 v0, 0
	s_and_saveexec_b64 s[78:79], vcc
	s_cbranch_execz .LBB0_420
; %bb.413:                              ;   in Loop: Header=BB0_115 Depth=3
	v_cmp_ne_u16_e64 s[20:21], s50, v2
	v_bfrev_b32_e32 v0, 1
	s_and_saveexec_b64 s[88:89], s[20:21]
	s_cbranch_execz .LBB0_419
; %bb.414:                              ;   in Loop: Header=BB0_115 Depth=3
	v_and_b32_e32 v0, 0x7c, v2
	v_and_b32_e32 v6, 3, v2
	v_cmp_ne_u32_e64 s[20:21], s49, v0
                                        ; implicit-def: $vgpr0
	s_and_saveexec_b64 s[90:91], s[20:21]
	s_xor_b64 s[90:91], exec, s[90:91]
	s_cbranch_execz .LBB0_416
; %bb.415:                              ;   in Loop: Header=BB0_115 Depth=3
	v_ffbh_u32_e32 v17, v6
	v_min_u32_e32 v17, 32, v17
	v_mov_b32_e32 v3, v59
	v_subrev_u32_e32 v20, 29, v17
	v_bfe_u32 v0, v2, 2, 5
	v_lshlrev_b64 v[2:3], v20, v[2:3]
	v_sub_u32_e32 v3, 30, v17
	v_cmp_eq_u32_e64 s[20:21], 0, v0
	v_cndmask_b32_e64 v0, v0, v3, s[20:21]
	v_lshlrev_b32_e32 v3, 16, v21
	v_and_b32_e32 v2, 3, v2
	v_and_b32_e32 v3, 0x80000000, v3
	v_cndmask_b32_e64 v2, v6, v2, s[20:21]
	v_lshl_add_u32 v0, v0, 23, v3
	v_lshl_or_b32 v0, v2, 21, v0
	v_add_u32_e32 v0, 0x38000000, v0
                                        ; implicit-def: $vgpr6
.LBB0_416:                              ;   in Loop: Header=BB0_115 Depth=3
	s_andn2_saveexec_b64 s[90:91], s[90:91]
; %bb.417:                              ;   in Loop: Header=BB0_115 Depth=3
	v_cmp_lt_i16_e64 s[20:21], -1, v21
	v_cndmask_b32_e64 v0, v8, v54, s[20:21]
	v_cmp_eq_u32_e64 s[20:21], 0, v6
	v_cndmask_b32_e64 v0, v55, v0, s[20:21]
; %bb.418:                              ;   in Loop: Header=BB0_115 Depth=3
	s_or_b64 exec, exec, s[90:91]
.LBB0_419:                              ;   in Loop: Header=BB0_115 Depth=3
	s_or_b64 exec, exec, s[88:89]
.LBB0_420:                              ;   in Loop: Header=BB0_115 Depth=3
	s_or_b64 exec, exec, s[78:79]
	v_cmp_ne_u16_e64 s[20:21], 0, v19
	s_and_saveexec_b64 s[78:79], s[20:21]
	s_cbranch_execz .LBB0_428
; %bb.421:                              ;   in Loop: Header=BB0_115 Depth=3
	v_cmp_ne_u16_e64 s[20:21], s50, v19
	v_bfrev_b32_e32 v5, 1
	s_and_saveexec_b64 s[88:89], s[20:21]
	s_cbranch_execz .LBB0_427
; %bb.422:                              ;   in Loop: Header=BB0_115 Depth=3
	v_and_b32_e32 v3, 0x7c, v19
	v_and_b32_e32 v2, 3, v19
	v_cmp_ne_u32_e64 s[20:21], s49, v3
                                        ; implicit-def: $vgpr5
	s_and_saveexec_b64 s[90:91], s[20:21]
	s_xor_b64 s[90:91], exec, s[90:91]
	s_cbranch_execz .LBB0_424
; %bb.423:                              ;   in Loop: Header=BB0_115 Depth=3
	v_ffbh_u32_e32 v5, v2
	v_min_u32_e32 v17, 32, v5
	v_mov_b32_e32 v20, v59
	v_subrev_u32_e32 v5, 29, v17
	v_lshlrev_b64 v[5:6], v5, v[19:20]
	v_bfe_u32 v3, v19, 2, 5
	v_and_b32_e32 v5, 3, v5
	v_cmp_eq_u32_e64 s[20:21], 0, v3
	v_sub_u32_e32 v6, 30, v17
	v_cndmask_b32_e64 v2, v2, v5, s[20:21]
	v_lshlrev_b32_e32 v5, 16, v58
	v_cndmask_b32_e64 v3, v3, v6, s[20:21]
	v_and_b32_e32 v5, 0x80000000, v5
	v_lshl_add_u32 v3, v3, 23, v5
	v_lshl_or_b32 v2, v2, 21, v3
	v_add_u32_e32 v5, 0x38000000, v2
                                        ; implicit-def: $vgpr2
.LBB0_424:                              ;   in Loop: Header=BB0_115 Depth=3
	s_andn2_saveexec_b64 s[90:91], s[90:91]
; %bb.425:                              ;   in Loop: Header=BB0_115 Depth=3
	v_cmp_lt_i16_e64 s[20:21], -1, v58
	v_cndmask_b32_e64 v3, v8, v54, s[20:21]
	v_cmp_eq_u32_e64 s[20:21], 0, v2
	v_cndmask_b32_e64 v5, v55, v3, s[20:21]
; %bb.426:                              ;   in Loop: Header=BB0_115 Depth=3
	s_or_b64 exec, exec, s[90:91]
.LBB0_427:                              ;   in Loop: Header=BB0_115 Depth=3
	s_or_b64 exec, exec, s[88:89]
.LBB0_428:                              ;   in Loop: Header=BB0_115 Depth=3
	s_or_b64 exec, exec, s[78:79]
	v_max_f32_e32 v2, v5, v5
	v_max_f32_e32 v0, v0, v0
	;; [unrolled: 1-line block ×3, first 2 shown]
                                        ; implicit-def: $vgpr19
                                        ; implicit-def: $vgpr2
.LBB0_429:                              ;   in Loop: Header=BB0_115 Depth=3
	s_andn2_saveexec_b64 s[20:21], s[76:77]
	s_cbranch_execz .LBB0_447
; %bb.430:                              ;   in Loop: Header=BB0_115 Depth=3
	v_mov_b32_e32 v5, 0
	v_mov_b32_e32 v0, 0
	s_and_saveexec_b64 s[76:77], vcc
	s_cbranch_execz .LBB0_438
; %bb.431:                              ;   in Loop: Header=BB0_115 Depth=3
	v_cmp_ne_u16_e32 vcc, s50, v2
	v_bfrev_b32_e32 v0, 1
	s_and_saveexec_b64 s[78:79], vcc
	s_cbranch_execz .LBB0_437
; %bb.432:                              ;   in Loop: Header=BB0_115 Depth=3
	v_and_b32_e32 v0, 0x7c, v2
	v_and_b32_e32 v6, 3, v2
	v_cmp_ne_u32_e32 vcc, s49, v0
                                        ; implicit-def: $vgpr0
	s_and_saveexec_b64 s[88:89], vcc
	s_xor_b64 s[88:89], exec, s[88:89]
	s_cbranch_execz .LBB0_434
; %bb.433:                              ;   in Loop: Header=BB0_115 Depth=3
	v_ffbh_u32_e32 v17, v6
	v_min_u32_e32 v17, 32, v17
	v_mov_b32_e32 v3, v59
	v_subrev_u32_e32 v20, 29, v17
	v_bfe_u32 v0, v2, 2, 5
	v_lshlrev_b64 v[2:3], v20, v[2:3]
	v_sub_u32_e32 v3, 30, v17
	v_cmp_eq_u32_e32 vcc, 0, v0
	v_cndmask_b32_e32 v0, v0, v3, vcc
	v_lshlrev_b32_e32 v3, 16, v21
	v_and_b32_e32 v2, 3, v2
	v_and_b32_e32 v3, 0x80000000, v3
	v_cndmask_b32_e32 v2, v6, v2, vcc
	v_lshl_add_u32 v0, v0, 23, v3
	v_lshl_or_b32 v0, v2, 21, v0
	v_add_u32_e32 v0, 0x38000000, v0
                                        ; implicit-def: $vgpr6
.LBB0_434:                              ;   in Loop: Header=BB0_115 Depth=3
	s_andn2_saveexec_b64 s[88:89], s[88:89]
; %bb.435:                              ;   in Loop: Header=BB0_115 Depth=3
	v_cmp_lt_i16_e32 vcc, -1, v21
	v_cndmask_b32_e32 v0, v8, v54, vcc
	v_cmp_eq_u32_e32 vcc, 0, v6
	v_cndmask_b32_e32 v0, v55, v0, vcc
; %bb.436:                              ;   in Loop: Header=BB0_115 Depth=3
	s_or_b64 exec, exec, s[88:89]
.LBB0_437:                              ;   in Loop: Header=BB0_115 Depth=3
	s_or_b64 exec, exec, s[78:79]
.LBB0_438:                              ;   in Loop: Header=BB0_115 Depth=3
	s_or_b64 exec, exec, s[76:77]
	v_cmp_ne_u16_e32 vcc, 0, v19
	s_and_saveexec_b64 s[76:77], vcc
	s_cbranch_execz .LBB0_446
; %bb.439:                              ;   in Loop: Header=BB0_115 Depth=3
	v_cmp_ne_u16_e32 vcc, s50, v19
	v_bfrev_b32_e32 v5, 1
	s_and_saveexec_b64 s[78:79], vcc
	s_cbranch_execz .LBB0_445
; %bb.440:                              ;   in Loop: Header=BB0_115 Depth=3
	v_and_b32_e32 v3, 0x7c, v19
	v_and_b32_e32 v2, 3, v19
	v_cmp_ne_u32_e32 vcc, s49, v3
                                        ; implicit-def: $vgpr5
	s_and_saveexec_b64 s[88:89], vcc
	s_xor_b64 s[88:89], exec, s[88:89]
	s_cbranch_execz .LBB0_442
; %bb.441:                              ;   in Loop: Header=BB0_115 Depth=3
	v_ffbh_u32_e32 v5, v2
	v_min_u32_e32 v17, 32, v5
	v_mov_b32_e32 v20, v59
	v_subrev_u32_e32 v5, 29, v17
	v_lshlrev_b64 v[5:6], v5, v[19:20]
	v_bfe_u32 v3, v19, 2, 5
	v_and_b32_e32 v5, 3, v5
	v_cmp_eq_u32_e32 vcc, 0, v3
	v_sub_u32_e32 v6, 30, v17
	v_cndmask_b32_e32 v2, v2, v5, vcc
	v_lshlrev_b32_e32 v5, 16, v58
	v_cndmask_b32_e32 v3, v3, v6, vcc
	v_and_b32_e32 v5, 0x80000000, v5
	v_lshl_add_u32 v3, v3, 23, v5
	v_lshl_or_b32 v2, v2, 21, v3
	v_add_u32_e32 v5, 0x38000000, v2
                                        ; implicit-def: $vgpr2
.LBB0_442:                              ;   in Loop: Header=BB0_115 Depth=3
	s_andn2_saveexec_b64 s[88:89], s[88:89]
; %bb.443:                              ;   in Loop: Header=BB0_115 Depth=3
	v_cmp_lt_i16_e32 vcc, -1, v58
	v_cndmask_b32_e32 v3, v8, v54, vcc
	v_cmp_eq_u32_e32 vcc, 0, v2
	v_cndmask_b32_e32 v5, v55, v3, vcc
; %bb.444:                              ;   in Loop: Header=BB0_115 Depth=3
	s_or_b64 exec, exec, s[88:89]
.LBB0_445:                              ;   in Loop: Header=BB0_115 Depth=3
	s_or_b64 exec, exec, s[78:79]
.LBB0_446:                              ;   in Loop: Header=BB0_115 Depth=3
	s_or_b64 exec, exec, s[76:77]
	v_max_f32_e32 v2, v5, v5
	v_max_f32_e32 v0, v0, v0
	v_min_f32_e32 v5, v0, v2
.LBB0_447:                              ;   in Loop: Header=BB0_115 Depth=3
	s_or_b64 exec, exec, s[20:21]
	v_and_b32_e32 v19, 0x7f800000, v5
	v_mov_b32_e32 v20, v59
	v_cmp_ne_u64_e32 vcc, s[58:59], v[19:20]
	v_and_b32_e32 v2, 0x7fffff, v5
	v_mov_b32_e32 v3, v59
                                        ; implicit-def: $vgpr19
	s_and_saveexec_b64 s[20:21], vcc
	s_xor_b64 s[76:77], exec, s[20:21]
	s_cbranch_execz .LBB0_461
; %bb.448:                              ;   in Loop: Header=BB0_115 Depth=3
	v_and_b32_e32 v19, 0x7fffffff, v5
	v_mov_b32_e32 v20, v59
	v_cmp_gt_u64_e32 vcc, s[60:61], v[19:20]
	v_and_b32_sdwa v0, v5, s50 dst_sel:DWORD dst_unused:UNUSED_PAD src0_sel:BYTE_3 src1_sel:DWORD
                                        ; implicit-def: $vgpr19
	s_and_saveexec_b64 s[20:21], vcc
	s_xor_b64 s[78:79], exec, s[20:21]
	s_cbranch_execz .LBB0_458
; %bb.449:                              ;   in Loop: Header=BB0_115 Depth=3
	v_mov_b32_e32 v19, 0
	v_cmp_ne_u32_e32 vcc, 0, v5
	s_and_saveexec_b64 s[88:89], vcc
	s_cbranch_execz .LBB0_457
; %bb.450:                              ;   in Loop: Header=BB0_115 Depth=3
	v_bfe_u32 v17, v5, 23, 8
	v_cmp_gt_u32_e64 s[20:21], s51, v17
	v_sub_u32_e32 v5, 0x71, v17
	v_cmp_eq_u32_e32 vcc, 0, v17
	v_cndmask_b32_e64 v5, 0, v5, s[20:21]
	v_cndmask_b32_e32 v19, v5, v25, vcc
	v_or_b32_e32 v6, 0x800000, v2
	v_add_u32_e32 v5, 21, v19
	v_cndmask_b32_e32 v2, v6, v2, vcc
	v_lshlrev_b64 v[5:6], v5, -1
	v_add_u32_e32 v20, 20, v19
	v_bfi_b32 v5, v5, 0, v2
	v_lshlrev_b64 v[27:28], v20, 1
	v_lshrrev_b64 v[2:3], v19, v[2:3]
	v_bfi_b32 v6, v6, 0, 0
	v_cmp_eq_u64_e64 s[20:21], v[5:6], v[27:28]
	v_mov_b32_e32 v6, v3
	v_mov_b32_e32 v5, v2
	s_and_saveexec_b64 s[90:91], s[20:21]
; %bb.451:                              ;   in Loop: Header=BB0_115 Depth=3
	v_bfe_u32 v3, v2, 21, 1
	v_add_co_u32_e64 v3, s[20:21], v2, v3
	v_add_co_u32_e64 v5, s[20:21], -1, v3
; %bb.452:                              ;   in Loop: Header=BB0_115 Depth=3
	s_or_b64 exec, exec, s[90:91]
	v_add_u32_e32 v3, 0xffffff81, v17
	v_cndmask_b32_e32 v3, v3, v48, vcc
	v_lshrrev_b32_e32 v6, 23, v2
	v_add3_u32 v17, v19, v3, v6
	v_add_u32_e32 v6, 14, v17
	v_and_b32_e32 v3, 0x1fffff, v5
	v_add_u32_e32 v2, v3, v2
	v_mov_b32_e32 v3, v59
	v_cmp_ne_u32_e32 vcc, 0, v6
                                        ; implicit-def: $vgpr5
	s_and_saveexec_b64 s[20:21], vcc
	s_xor_b64 s[20:21], exec, s[20:21]
; %bb.453:                              ;   in Loop: Header=BB0_115 Depth=3
	v_cmp_lt_u64_e32 vcc, s[62:63], v[2:3]
	v_add_u32_e32 v5, 15, v17
	v_cndmask_b32_e32 v5, v6, v5, vcc
	v_cndmask_b32_e64 v6, 0, 1, vcc
	v_lshrrev_b64 v[2:3], v6, v[2:3]
; %bb.454:                              ;   in Loop: Header=BB0_115 Depth=3
	s_andn2_saveexec_b64 s[20:21], s[20:21]
; %bb.455:                              ;   in Loop: Header=BB0_115 Depth=3
	v_bfe_u32 v5, v2, 23, 1
; %bb.456:                              ;   in Loop: Header=BB0_115 Depth=3
	s_or_b64 exec, exec, s[20:21]
	v_lshrrev_b64 v[2:3], 21, v[2:3]
	v_cmp_gt_i32_e32 vcc, 32, v5
	v_cndmask_b32_e32 v3, 0, v3, vcc
	v_cndmask_b32_e32 v2, 3, v2, vcc
	v_cmp_eq_u64_e64 s[20:21], 0, v[2:3]
	v_min_i32_e32 v3, 31, v5
	v_lshlrev_b32_e32 v3, 2, v3
	v_cmp_eq_u32_e32 vcc, 0, v5
	v_and_b32_e32 v3, 0xfc, v3
	v_and_or_b32 v2, v2, 3, v3
	s_and_b64 s[20:21], vcc, s[20:21]
	v_cndmask_b32_e64 v2, v2, 0, s[20:21]
	v_or_b32_e32 v19, v2, v0
.LBB0_457:                              ;   in Loop: Header=BB0_115 Depth=3
	s_or_b64 exec, exec, s[88:89]
                                        ; implicit-def: $vgpr0
.LBB0_458:                              ;   in Loop: Header=BB0_115 Depth=3
	s_andn2_saveexec_b64 s[20:21], s[78:79]
; %bb.459:                              ;   in Loop: Header=BB0_115 Depth=3
	v_or_b32_e32 v19, 0x7b, v0
; %bb.460:                              ;   in Loop: Header=BB0_115 Depth=3
	s_or_b64 exec, exec, s[20:21]
                                        ; implicit-def: $vgpr5
                                        ; implicit-def: $vgpr2_vgpr3
.LBB0_461:                              ;   in Loop: Header=BB0_115 Depth=3
	s_andn2_saveexec_b64 s[20:21], s[76:77]
	s_cbranch_execz .LBB0_467
; %bb.462:                              ;   in Loop: Header=BB0_115 Depth=3
	v_cmp_ne_u64_e32 vcc, 0, v[2:3]
                                        ; implicit-def: $vgpr19
	s_and_saveexec_b64 s[76:77], vcc
	s_xor_b64 s[76:77], exec, s[76:77]
; %bb.463:                              ;   in Loop: Header=BB0_115 Depth=3
	v_or_b32_sdwa v19, v5, s52 dst_sel:DWORD dst_unused:UNUSED_PAD src0_sel:BYTE_3 src1_sel:DWORD
                                        ; implicit-def: $vgpr5
; %bb.464:                              ;   in Loop: Header=BB0_115 Depth=3
	s_andn2_saveexec_b64 s[76:77], s[76:77]
; %bb.465:                              ;   in Loop: Header=BB0_115 Depth=3
	v_cmp_lt_i32_e32 vcc, -1, v5
	v_cndmask_b32_e32 v19, v49, v31, vcc
; %bb.466:                              ;   in Loop: Header=BB0_115 Depth=3
	s_or_b64 exec, exec, s[76:77]
.LBB0_467:                              ;   in Loop: Header=BB0_115 Depth=3
	s_or_b64 exec, exec, s[20:21]
	v_lshrrev_b32_e32 v17, 16, v21
	v_lshrrev_b32_e32 v0, 16, v58
	v_cmp_ne_u16_sdwa s[20:21], v17, v59 src0_sel:BYTE_0 src1_sel:DWORD
                                        ; implicit-def: $vgpr5
	s_and_saveexec_b64 s[76:77], s[14:15]
	s_xor_b64 s[76:77], exec, s[76:77]
	s_cbranch_execz .LBB0_485
; %bb.468:                              ;   in Loop: Header=BB0_115 Depth=3
	v_mov_b32_e32 v3, 0
	v_mov_b32_e32 v2, 0
	s_and_saveexec_b64 s[78:79], s[20:21]
	s_cbranch_execz .LBB0_476
; %bb.469:                              ;   in Loop: Header=BB0_115 Depth=3
	v_cmp_ne_u16_sdwa s[90:91], v17, s50 src0_sel:BYTE_0 src1_sel:DWORD
	v_bfrev_b32_e32 v2, 1
	s_and_saveexec_b64 s[88:89], s[90:91]
	s_cbranch_execz .LBB0_475
; %bb.470:                              ;   in Loop: Header=BB0_115 Depth=3
	v_and_b32_e32 v2, 0x7c0000, v21
	v_bfe_u32 v5, v21, 16, 2
	v_cmp_ne_u32_e32 vcc, s53, v2
                                        ; implicit-def: $vgpr2
	s_and_saveexec_b64 s[90:91], vcc
	s_xor_b64 s[90:91], exec, s[90:91]
	s_cbranch_execz .LBB0_472
; %bb.471:                              ;   in Loop: Header=BB0_115 Depth=3
	v_ffbh_u32_e32 v6, v5
	v_min_u32_e32 v6, 32, v6
	v_bfe_u32 v2, v21, 18, 5
	v_subrev_u32_e32 v20, 29, v6
	v_lshlrev_b64 v[27:28], v20, v[17:18]
	v_sub_u32_e32 v6, 30, v6
	v_cmp_eq_u32_e32 vcc, 0, v2
	v_cndmask_b32_e32 v2, v2, v6, vcc
	v_lshlrev_b32_e32 v6, 24, v17
	v_and_b32_e32 v20, 3, v27
	v_and_b32_e32 v6, 0x80000000, v6
	v_cndmask_b32_e32 v5, v5, v20, vcc
	v_lshl_add_u32 v2, v2, 23, v6
	v_lshl_or_b32 v2, v5, 21, v2
	v_add_u32_e32 v2, 0x38000000, v2
                                        ; implicit-def: $vgpr5
                                        ; implicit-def: $vgpr17
.LBB0_472:                              ;   in Loop: Header=BB0_115 Depth=3
	s_andn2_saveexec_b64 s[90:91], s[90:91]
; %bb.473:                              ;   in Loop: Header=BB0_115 Depth=3
	v_cmp_gt_i16_sdwa vcc, sext(v17), v43 src0_sel:BYTE_0 src1_sel:DWORD
	v_cndmask_b32_e32 v2, v8, v54, vcc
	v_cmp_eq_u32_e32 vcc, 0, v5
	v_cndmask_b32_e32 v2, v55, v2, vcc
; %bb.474:                              ;   in Loop: Header=BB0_115 Depth=3
	s_or_b64 exec, exec, s[90:91]
.LBB0_475:                              ;   in Loop: Header=BB0_115 Depth=3
	s_or_b64 exec, exec, s[88:89]
.LBB0_476:                              ;   in Loop: Header=BB0_115 Depth=3
	s_or_b64 exec, exec, s[78:79]
	v_and_b32_sdwa v5, v58, s39 dst_sel:DWORD dst_unused:UNUSED_PAD src0_sel:WORD_1 src1_sel:DWORD
	v_cmp_ne_u16_e32 vcc, 0, v5
	s_and_saveexec_b64 s[78:79], vcc
	s_cbranch_execz .LBB0_484
; %bb.477:                              ;   in Loop: Header=BB0_115 Depth=3
	v_cmp_ne_u16_e32 vcc, s50, v5
	v_bfrev_b32_e32 v3, 1
	s_and_saveexec_b64 s[88:89], vcc
	s_cbranch_execz .LBB0_483
; %bb.478:                              ;   in Loop: Header=BB0_115 Depth=3
	v_and_b32_e32 v3, 0x7c0000, v58
	v_bfe_u32 v5, v58, 16, 2
	v_cmp_ne_u32_e32 vcc, s53, v3
                                        ; implicit-def: $vgpr3
	s_and_saveexec_b64 s[90:91], vcc
	s_xor_b64 s[90:91], exec, s[90:91]
	s_cbranch_execz .LBB0_480
; %bb.479:                              ;   in Loop: Header=BB0_115 Depth=3
	v_ffbh_u32_e32 v6, v5
	v_min_u32_e32 v6, 32, v6
	v_subrev_u32_e32 v17, 29, v6
	v_bfe_u32 v3, v58, 18, 5
	v_lshlrev_b64 v[27:28], v17, v[0:1]
	v_sub_u32_e32 v6, 30, v6
	v_cmp_eq_u32_e32 vcc, 0, v3
	v_lshlrev_b32_e32 v0, 24, v0
	v_and_b32_e32 v17, 3, v27
	v_cndmask_b32_e32 v3, v3, v6, vcc
	v_and_b32_e32 v0, 0x80000000, v0
	v_cndmask_b32_e32 v5, v5, v17, vcc
	v_lshl_add_u32 v0, v3, 23, v0
	v_lshl_or_b32 v0, v5, 21, v0
	v_add_u32_e32 v3, 0x38000000, v0
                                        ; implicit-def: $vgpr5
                                        ; implicit-def: $vgpr0
.LBB0_480:                              ;   in Loop: Header=BB0_115 Depth=3
	s_andn2_saveexec_b64 s[90:91], s[90:91]
; %bb.481:                              ;   in Loop: Header=BB0_115 Depth=3
	v_cmp_gt_i16_sdwa vcc, sext(v0), v43 src0_sel:BYTE_0 src1_sel:DWORD
	v_cndmask_b32_e32 v0, v8, v54, vcc
	v_cmp_eq_u32_e32 vcc, 0, v5
	v_cndmask_b32_e32 v3, v55, v0, vcc
; %bb.482:                              ;   in Loop: Header=BB0_115 Depth=3
	s_or_b64 exec, exec, s[90:91]
.LBB0_483:                              ;   in Loop: Header=BB0_115 Depth=3
	s_or_b64 exec, exec, s[88:89]
.LBB0_484:                              ;   in Loop: Header=BB0_115 Depth=3
	s_or_b64 exec, exec, s[78:79]
	v_max_f32_e32 v0, v3, v3
	v_max_f32_e32 v2, v2, v2
	;; [unrolled: 1-line block ×3, first 2 shown]
                                        ; implicit-def: $vgpr17
                                        ; implicit-def: $vgpr0
.LBB0_485:                              ;   in Loop: Header=BB0_115 Depth=3
	s_andn2_saveexec_b64 s[76:77], s[76:77]
	s_cbranch_execz .LBB0_503
; %bb.486:                              ;   in Loop: Header=BB0_115 Depth=3
	v_mov_b32_e32 v3, 0
	v_mov_b32_e32 v2, 0
	s_and_saveexec_b64 s[78:79], s[20:21]
	s_cbranch_execz .LBB0_494
; %bb.487:                              ;   in Loop: Header=BB0_115 Depth=3
	v_cmp_ne_u16_sdwa s[88:89], v17, s50 src0_sel:BYTE_0 src1_sel:DWORD
	v_bfrev_b32_e32 v2, 1
	s_and_saveexec_b64 s[20:21], s[88:89]
	s_cbranch_execz .LBB0_493
; %bb.488:                              ;   in Loop: Header=BB0_115 Depth=3
	v_and_b32_e32 v2, 0x7c0000, v21
	v_bfe_u32 v5, v21, 16, 2
	v_cmp_ne_u32_e32 vcc, s53, v2
                                        ; implicit-def: $vgpr2
	s_and_saveexec_b64 s[88:89], vcc
	s_xor_b64 s[88:89], exec, s[88:89]
	s_cbranch_execz .LBB0_490
; %bb.489:                              ;   in Loop: Header=BB0_115 Depth=3
	v_ffbh_u32_e32 v6, v5
	v_min_u32_e32 v6, 32, v6
	v_bfe_u32 v2, v21, 18, 5
	v_subrev_u32_e32 v20, 29, v6
	v_lshlrev_b64 v[27:28], v20, v[17:18]
	v_sub_u32_e32 v6, 30, v6
	v_cmp_eq_u32_e32 vcc, 0, v2
	v_cndmask_b32_e32 v2, v2, v6, vcc
	v_lshlrev_b32_e32 v6, 24, v17
	v_and_b32_e32 v20, 3, v27
	v_and_b32_e32 v6, 0x80000000, v6
	v_cndmask_b32_e32 v5, v5, v20, vcc
	v_lshl_add_u32 v2, v2, 23, v6
	v_lshl_or_b32 v2, v5, 21, v2
	v_add_u32_e32 v2, 0x38000000, v2
                                        ; implicit-def: $vgpr5
                                        ; implicit-def: $vgpr17
.LBB0_490:                              ;   in Loop: Header=BB0_115 Depth=3
	s_andn2_saveexec_b64 s[88:89], s[88:89]
; %bb.491:                              ;   in Loop: Header=BB0_115 Depth=3
	v_cmp_gt_i16_sdwa vcc, sext(v17), v43 src0_sel:BYTE_0 src1_sel:DWORD
	v_cndmask_b32_e32 v2, v8, v54, vcc
	v_cmp_eq_u32_e32 vcc, 0, v5
	v_cndmask_b32_e32 v2, v55, v2, vcc
; %bb.492:                              ;   in Loop: Header=BB0_115 Depth=3
	s_or_b64 exec, exec, s[88:89]
.LBB0_493:                              ;   in Loop: Header=BB0_115 Depth=3
	s_or_b64 exec, exec, s[20:21]
.LBB0_494:                              ;   in Loop: Header=BB0_115 Depth=3
	s_or_b64 exec, exec, s[78:79]
	v_and_b32_sdwa v5, v58, s39 dst_sel:DWORD dst_unused:UNUSED_PAD src0_sel:WORD_1 src1_sel:DWORD
	v_cmp_ne_u16_e32 vcc, 0, v5
	s_and_saveexec_b64 s[20:21], vcc
	s_cbranch_execz .LBB0_502
; %bb.495:                              ;   in Loop: Header=BB0_115 Depth=3
	v_cmp_ne_u16_e32 vcc, s50, v5
	v_bfrev_b32_e32 v3, 1
	s_and_saveexec_b64 s[78:79], vcc
	s_cbranch_execz .LBB0_501
; %bb.496:                              ;   in Loop: Header=BB0_115 Depth=3
	v_and_b32_e32 v3, 0x7c0000, v58
	v_bfe_u32 v5, v58, 16, 2
	v_cmp_ne_u32_e32 vcc, s53, v3
                                        ; implicit-def: $vgpr3
	s_and_saveexec_b64 s[88:89], vcc
	s_xor_b64 s[88:89], exec, s[88:89]
	s_cbranch_execz .LBB0_498
; %bb.497:                              ;   in Loop: Header=BB0_115 Depth=3
	v_ffbh_u32_e32 v6, v5
	v_min_u32_e32 v6, 32, v6
	v_subrev_u32_e32 v17, 29, v6
	v_bfe_u32 v3, v58, 18, 5
	v_lshlrev_b64 v[27:28], v17, v[0:1]
	v_sub_u32_e32 v6, 30, v6
	v_cmp_eq_u32_e32 vcc, 0, v3
	v_lshlrev_b32_e32 v0, 24, v0
	v_and_b32_e32 v17, 3, v27
	v_cndmask_b32_e32 v3, v3, v6, vcc
	v_and_b32_e32 v0, 0x80000000, v0
	v_cndmask_b32_e32 v5, v5, v17, vcc
	v_lshl_add_u32 v0, v3, 23, v0
	v_lshl_or_b32 v0, v5, 21, v0
	v_add_u32_e32 v3, 0x38000000, v0
                                        ; implicit-def: $vgpr5
                                        ; implicit-def: $vgpr0
.LBB0_498:                              ;   in Loop: Header=BB0_115 Depth=3
	s_andn2_saveexec_b64 s[88:89], s[88:89]
; %bb.499:                              ;   in Loop: Header=BB0_115 Depth=3
	v_cmp_gt_i16_sdwa vcc, sext(v0), v43 src0_sel:BYTE_0 src1_sel:DWORD
	v_cndmask_b32_e32 v0, v8, v54, vcc
	v_cmp_eq_u32_e32 vcc, 0, v5
	v_cndmask_b32_e32 v3, v55, v0, vcc
; %bb.500:                              ;   in Loop: Header=BB0_115 Depth=3
	s_or_b64 exec, exec, s[88:89]
.LBB0_501:                              ;   in Loop: Header=BB0_115 Depth=3
	s_or_b64 exec, exec, s[78:79]
.LBB0_502:                              ;   in Loop: Header=BB0_115 Depth=3
	s_or_b64 exec, exec, s[20:21]
	v_max_f32_e32 v0, v3, v3
	v_max_f32_e32 v2, v2, v2
	v_min_f32_e32 v5, v2, v0
.LBB0_503:                              ;   in Loop: Header=BB0_115 Depth=3
	s_or_b64 exec, exec, s[76:77]
	v_and_b32_e32 v27, 0x7f800000, v5
	v_mov_b32_e32 v28, v59
	v_cmp_ne_u64_e32 vcc, s[58:59], v[27:28]
	v_and_b32_e32 v2, 0x7fffff, v5
	v_mov_b32_e32 v3, v59
                                        ; implicit-def: $vgpr24
	s_and_saveexec_b64 s[20:21], vcc
	s_xor_b64 s[76:77], exec, s[20:21]
	s_cbranch_execz .LBB0_517
; %bb.504:                              ;   in Loop: Header=BB0_115 Depth=3
	v_and_b32_e32 v27, 0x7fffffff, v5
	v_mov_b32_e32 v28, v59
	v_cmp_gt_u64_e32 vcc, s[60:61], v[27:28]
	v_and_b32_sdwa v0, v5, s50 dst_sel:DWORD dst_unused:UNUSED_PAD src0_sel:BYTE_3 src1_sel:DWORD
                                        ; implicit-def: $vgpr24
	s_and_saveexec_b64 s[20:21], vcc
	s_xor_b64 s[78:79], exec, s[20:21]
	s_cbranch_execz .LBB0_514
; %bb.505:                              ;   in Loop: Header=BB0_115 Depth=3
	v_mov_b32_e32 v24, 0
	v_cmp_ne_u32_e32 vcc, 0, v5
	s_and_saveexec_b64 s[88:89], vcc
	s_cbranch_execz .LBB0_513
; %bb.506:                              ;   in Loop: Header=BB0_115 Depth=3
	v_bfe_u32 v17, v5, 23, 8
	v_cmp_gt_u32_e64 s[20:21], s51, v17
	v_sub_u32_e32 v5, 0x71, v17
	v_cmp_eq_u32_e32 vcc, 0, v17
	v_cndmask_b32_e64 v5, 0, v5, s[20:21]
	v_cndmask_b32_e32 v20, v5, v25, vcc
	v_or_b32_e32 v6, 0x800000, v2
	v_add_u32_e32 v5, 21, v20
	v_cndmask_b32_e32 v2, v6, v2, vcc
	v_lshlrev_b64 v[5:6], v5, -1
	v_add_u32_e32 v24, 20, v20
	v_bfi_b32 v5, v5, 0, v2
	v_lshlrev_b64 v[27:28], v24, 1
	v_lshrrev_b64 v[2:3], v20, v[2:3]
	v_bfi_b32 v6, v6, 0, 0
	v_cmp_eq_u64_e64 s[20:21], v[5:6], v[27:28]
	v_mov_b32_e32 v6, v3
	v_mov_b32_e32 v5, v2
	s_and_saveexec_b64 s[90:91], s[20:21]
; %bb.507:                              ;   in Loop: Header=BB0_115 Depth=3
	v_bfe_u32 v3, v2, 21, 1
	v_add_co_u32_e64 v3, s[20:21], v2, v3
	v_add_co_u32_e64 v5, s[20:21], -1, v3
; %bb.508:                              ;   in Loop: Header=BB0_115 Depth=3
	s_or_b64 exec, exec, s[90:91]
	v_add_u32_e32 v3, 0xffffff81, v17
	v_cndmask_b32_e32 v3, v3, v48, vcc
	v_lshrrev_b32_e32 v6, 23, v2
	v_add3_u32 v17, v20, v3, v6
	v_add_u32_e32 v6, 14, v17
	v_and_b32_e32 v3, 0x1fffff, v5
	v_add_u32_e32 v2, v3, v2
	v_mov_b32_e32 v3, v59
	v_cmp_ne_u32_e32 vcc, 0, v6
                                        ; implicit-def: $vgpr5
	s_and_saveexec_b64 s[20:21], vcc
	s_xor_b64 s[20:21], exec, s[20:21]
; %bb.509:                              ;   in Loop: Header=BB0_115 Depth=3
	v_cmp_lt_u64_e32 vcc, s[62:63], v[2:3]
	v_add_u32_e32 v5, 15, v17
	v_cndmask_b32_e32 v5, v6, v5, vcc
	v_cndmask_b32_e64 v6, 0, 1, vcc
	v_lshrrev_b64 v[2:3], v6, v[2:3]
; %bb.510:                              ;   in Loop: Header=BB0_115 Depth=3
	s_andn2_saveexec_b64 s[20:21], s[20:21]
; %bb.511:                              ;   in Loop: Header=BB0_115 Depth=3
	v_bfe_u32 v5, v2, 23, 1
; %bb.512:                              ;   in Loop: Header=BB0_115 Depth=3
	s_or_b64 exec, exec, s[20:21]
	v_lshrrev_b64 v[2:3], 21, v[2:3]
	v_cmp_gt_i32_e32 vcc, 32, v5
	v_cndmask_b32_e32 v3, 0, v3, vcc
	v_cndmask_b32_e32 v2, 3, v2, vcc
	v_cmp_eq_u64_e64 s[20:21], 0, v[2:3]
	v_min_i32_e32 v3, 31, v5
	v_lshlrev_b32_e32 v3, 2, v3
	v_cmp_eq_u32_e32 vcc, 0, v5
	v_and_b32_e32 v3, 0xfc, v3
	v_and_or_b32 v2, v2, 3, v3
	s_and_b64 s[20:21], vcc, s[20:21]
	v_cndmask_b32_e64 v2, v2, 0, s[20:21]
	v_or_b32_e32 v24, v2, v0
.LBB0_513:                              ;   in Loop: Header=BB0_115 Depth=3
	s_or_b64 exec, exec, s[88:89]
                                        ; implicit-def: $vgpr0
.LBB0_514:                              ;   in Loop: Header=BB0_115 Depth=3
	s_andn2_saveexec_b64 s[20:21], s[78:79]
; %bb.515:                              ;   in Loop: Header=BB0_115 Depth=3
	v_or_b32_e32 v24, 0x7b, v0
; %bb.516:                              ;   in Loop: Header=BB0_115 Depth=3
	s_or_b64 exec, exec, s[20:21]
                                        ; implicit-def: $vgpr5
                                        ; implicit-def: $vgpr2_vgpr3
.LBB0_517:                              ;   in Loop: Header=BB0_115 Depth=3
	s_andn2_saveexec_b64 s[20:21], s[76:77]
	s_cbranch_execz .LBB0_523
; %bb.518:                              ;   in Loop: Header=BB0_115 Depth=3
	v_cmp_ne_u64_e32 vcc, 0, v[2:3]
                                        ; implicit-def: $vgpr24
	s_and_saveexec_b64 s[76:77], vcc
	s_xor_b64 s[76:77], exec, s[76:77]
; %bb.519:                              ;   in Loop: Header=BB0_115 Depth=3
	v_or_b32_sdwa v24, v5, s52 dst_sel:DWORD dst_unused:UNUSED_PAD src0_sel:BYTE_3 src1_sel:DWORD
                                        ; implicit-def: $vgpr5
; %bb.520:                              ;   in Loop: Header=BB0_115 Depth=3
	s_andn2_saveexec_b64 s[76:77], s[76:77]
; %bb.521:                              ;   in Loop: Header=BB0_115 Depth=3
	v_cmp_lt_i32_e32 vcc, -1, v5
	v_cndmask_b32_e32 v24, v49, v31, vcc
; %bb.522:                              ;   in Loop: Header=BB0_115 Depth=3
	s_or_b64 exec, exec, s[76:77]
.LBB0_523:                              ;   in Loop: Header=BB0_115 Depth=3
	s_or_b64 exec, exec, s[20:21]
	v_mov_b32_e32 v20, v59
	v_cmp_lt_u64_e32 vcc, s[56:57], v[20:21]
	v_lshrrev_b32_e32 v17, 24, v21
	v_lshrrev_b32_e32 v0, 24, v58
	v_mov_b32_e32 v27, v59
	v_mov_b32_e32 v28, v58
                                        ; implicit-def: $vgpr2
	s_and_saveexec_b64 s[20:21], s[14:15]
	s_xor_b64 s[76:77], exec, s[20:21]
	s_cbranch_execz .LBB0_541
; %bb.524:                              ;   in Loop: Header=BB0_115 Depth=3
	v_mov_b32_e32 v3, 0
	v_mov_b32_e32 v2, 0
	s_and_saveexec_b64 s[78:79], vcc
	s_cbranch_execz .LBB0_532
; %bb.525:                              ;   in Loop: Header=BB0_115 Depth=3
	v_cmp_ne_u32_e64 s[20:21], s50, v17
	v_bfrev_b32_e32 v2, 1
	s_and_saveexec_b64 s[88:89], s[20:21]
	s_cbranch_execz .LBB0_531
; %bb.526:                              ;   in Loop: Header=BB0_115 Depth=3
	v_and_b32_e32 v2, 0x7c000000, v21
	v_bfe_u32 v5, v21, 24, 2
	v_cmp_ne_u32_e64 s[20:21], s54, v2
                                        ; implicit-def: $vgpr2
	s_and_saveexec_b64 s[90:91], s[20:21]
	s_xor_b64 s[90:91], exec, s[90:91]
	s_cbranch_execz .LBB0_528
; %bb.527:                              ;   in Loop: Header=BB0_115 Depth=3
	v_ffbh_u32_e32 v6, v5
	v_min_u32_e32 v6, 32, v6
	v_subrev_u32_e32 v20, 29, v6
	v_bfe_u32 v2, v21, 26, 5
	v_lshlrev_b64 v[38:39], v20, v[17:18]
	v_sub_u32_e32 v6, 30, v6
	v_cmp_eq_u32_e64 s[20:21], 0, v2
	v_and_b32_e32 v17, 3, v38
	v_cndmask_b32_e64 v2, v2, v6, s[20:21]
	v_and_b32_e32 v6, 0x80000000, v21
	v_cndmask_b32_e64 v5, v5, v17, s[20:21]
	v_lshl_add_u32 v2, v2, 23, v6
	v_lshl_or_b32 v2, v5, 21, v2
	v_add_u32_e32 v2, 0x38000000, v2
                                        ; implicit-def: $vgpr5
                                        ; implicit-def: $vgpr20_vgpr21
.LBB0_528:                              ;   in Loop: Header=BB0_115 Depth=3
	s_andn2_saveexec_b64 s[90:91], s[90:91]
; %bb.529:                              ;   in Loop: Header=BB0_115 Depth=3
	v_cmp_lt_i64_e64 s[20:21], -1, v[20:21]
	v_cndmask_b32_e64 v2, v8, v54, s[20:21]
	v_cmp_eq_u32_e64 s[20:21], 0, v5
	v_cndmask_b32_e64 v2, v55, v2, s[20:21]
; %bb.530:                              ;   in Loop: Header=BB0_115 Depth=3
	s_or_b64 exec, exec, s[90:91]
.LBB0_531:                              ;   in Loop: Header=BB0_115 Depth=3
	s_or_b64 exec, exec, s[88:89]
.LBB0_532:                              ;   in Loop: Header=BB0_115 Depth=3
	s_or_b64 exec, exec, s[78:79]
	v_cmp_lt_u32_e64 s[20:21], s57, v58
	s_and_saveexec_b64 s[78:79], s[20:21]
	s_cbranch_execz .LBB0_540
; %bb.533:                              ;   in Loop: Header=BB0_115 Depth=3
	v_cmp_ne_u32_e64 s[20:21], s50, v0
	v_bfrev_b32_e32 v3, 1
	s_and_saveexec_b64 s[88:89], s[20:21]
	s_cbranch_execz .LBB0_539
; %bb.534:                              ;   in Loop: Header=BB0_115 Depth=3
	v_and_b32_e32 v3, 0x7c000000, v58
	v_bfe_u32 v5, v58, 24, 2
	v_cmp_ne_u32_e64 s[20:21], s54, v3
                                        ; implicit-def: $vgpr3
	s_and_saveexec_b64 s[90:91], s[20:21]
	s_xor_b64 s[90:91], exec, s[90:91]
	s_cbranch_execz .LBB0_536
; %bb.535:                              ;   in Loop: Header=BB0_115 Depth=3
	v_ffbh_u32_e32 v6, v5
	v_min_u32_e32 v6, 32, v6
	v_subrev_u32_e32 v17, 29, v6
	v_lshlrev_b64 v[20:21], v17, v[0:1]
	v_bfe_u32 v3, v58, 26, 5
	v_sub_u32_e32 v0, 30, v6
	v_and_b32_e32 v6, 3, v20
	v_cmp_eq_u32_e64 s[20:21], 0, v3
	v_cndmask_b32_e64 v0, v3, v0, s[20:21]
	v_cndmask_b32_e64 v3, v5, v6, s[20:21]
	v_and_b32_e32 v5, 0x80000000, v58
	v_lshl_add_u32 v0, v0, 23, v5
	v_lshl_or_b32 v0, v3, 21, v0
	v_add_u32_e32 v3, 0x38000000, v0
                                        ; implicit-def: $vgpr5
                                        ; implicit-def: $vgpr27_vgpr28
.LBB0_536:                              ;   in Loop: Header=BB0_115 Depth=3
	s_andn2_saveexec_b64 s[90:91], s[90:91]
; %bb.537:                              ;   in Loop: Header=BB0_115 Depth=3
	v_cmp_lt_i64_e64 s[20:21], -1, v[27:28]
	v_cndmask_b32_e64 v0, v8, v54, s[20:21]
	v_cmp_eq_u32_e64 s[20:21], 0, v5
	v_cndmask_b32_e64 v3, v55, v0, s[20:21]
; %bb.538:                              ;   in Loop: Header=BB0_115 Depth=3
	s_or_b64 exec, exec, s[90:91]
.LBB0_539:                              ;   in Loop: Header=BB0_115 Depth=3
	s_or_b64 exec, exec, s[88:89]
.LBB0_540:                              ;   in Loop: Header=BB0_115 Depth=3
	s_or_b64 exec, exec, s[78:79]
	v_max_f32_e32 v0, v3, v3
	v_max_f32_e32 v2, v2, v2
	;; [unrolled: 1-line block ×3, first 2 shown]
                                        ; implicit-def: $vgpr0
                                        ; implicit-def: $vgpr17
                                        ; implicit-def: $vgpr27_vgpr28
                                        ; implicit-def: $vgpr20_vgpr21
.LBB0_541:                              ;   in Loop: Header=BB0_115 Depth=3
	s_andn2_saveexec_b64 s[20:21], s[76:77]
	s_cbranch_execz .LBB0_559
; %bb.542:                              ;   in Loop: Header=BB0_115 Depth=3
	v_mov_b32_e32 v3, 0
	v_mov_b32_e32 v2, 0
	s_and_saveexec_b64 s[76:77], vcc
	s_cbranch_execz .LBB0_550
; %bb.543:                              ;   in Loop: Header=BB0_115 Depth=3
	v_cmp_ne_u32_e32 vcc, s50, v17
	v_bfrev_b32_e32 v2, 1
	s_and_saveexec_b64 s[78:79], vcc
	s_cbranch_execz .LBB0_549
; %bb.544:                              ;   in Loop: Header=BB0_115 Depth=3
	v_and_b32_e32 v2, 0x7c000000, v21
	v_bfe_u32 v5, v21, 24, 2
	v_cmp_ne_u32_e32 vcc, s54, v2
                                        ; implicit-def: $vgpr2
	s_and_saveexec_b64 s[88:89], vcc
	s_xor_b64 s[88:89], exec, s[88:89]
	s_cbranch_execz .LBB0_546
; %bb.545:                              ;   in Loop: Header=BB0_115 Depth=3
	v_ffbh_u32_e32 v6, v5
	v_min_u32_e32 v6, 32, v6
	v_subrev_u32_e32 v20, 29, v6
	v_bfe_u32 v2, v21, 26, 5
	v_lshlrev_b64 v[38:39], v20, v[17:18]
	v_sub_u32_e32 v6, 30, v6
	v_cmp_eq_u32_e32 vcc, 0, v2
	v_and_b32_e32 v17, 3, v38
	v_cndmask_b32_e32 v2, v2, v6, vcc
	v_and_b32_e32 v6, 0x80000000, v21
	v_cndmask_b32_e32 v5, v5, v17, vcc
	v_lshl_add_u32 v2, v2, 23, v6
	v_lshl_or_b32 v2, v5, 21, v2
	v_add_u32_e32 v2, 0x38000000, v2
                                        ; implicit-def: $vgpr5
                                        ; implicit-def: $vgpr20_vgpr21
.LBB0_546:                              ;   in Loop: Header=BB0_115 Depth=3
	s_andn2_saveexec_b64 s[88:89], s[88:89]
; %bb.547:                              ;   in Loop: Header=BB0_115 Depth=3
	v_cmp_lt_i64_e32 vcc, -1, v[20:21]
	v_cndmask_b32_e32 v2, v8, v54, vcc
	v_cmp_eq_u32_e32 vcc, 0, v5
	v_cndmask_b32_e32 v2, v55, v2, vcc
; %bb.548:                              ;   in Loop: Header=BB0_115 Depth=3
	s_or_b64 exec, exec, s[88:89]
.LBB0_549:                              ;   in Loop: Header=BB0_115 Depth=3
	s_or_b64 exec, exec, s[78:79]
.LBB0_550:                              ;   in Loop: Header=BB0_115 Depth=3
	s_or_b64 exec, exec, s[76:77]
	v_cmp_lt_u32_e32 vcc, s57, v58
	s_and_saveexec_b64 s[76:77], vcc
	s_cbranch_execz .LBB0_558
; %bb.551:                              ;   in Loop: Header=BB0_115 Depth=3
	v_cmp_ne_u32_e32 vcc, s50, v0
	v_bfrev_b32_e32 v3, 1
	s_and_saveexec_b64 s[78:79], vcc
	s_cbranch_execz .LBB0_557
; %bb.552:                              ;   in Loop: Header=BB0_115 Depth=3
	v_and_b32_e32 v3, 0x7c000000, v58
	v_bfe_u32 v5, v58, 24, 2
	v_cmp_ne_u32_e32 vcc, s54, v3
                                        ; implicit-def: $vgpr3
	s_and_saveexec_b64 s[88:89], vcc
	s_xor_b64 s[88:89], exec, s[88:89]
	s_cbranch_execz .LBB0_554
; %bb.553:                              ;   in Loop: Header=BB0_115 Depth=3
	v_ffbh_u32_e32 v6, v5
	v_min_u32_e32 v6, 32, v6
	v_subrev_u32_e32 v17, 29, v6
	v_lshlrev_b64 v[20:21], v17, v[0:1]
	v_bfe_u32 v3, v58, 26, 5
	v_sub_u32_e32 v0, 30, v6
	v_and_b32_e32 v6, 3, v20
	v_cmp_eq_u32_e32 vcc, 0, v3
	v_cndmask_b32_e32 v0, v3, v0, vcc
	v_cndmask_b32_e32 v3, v5, v6, vcc
	v_and_b32_e32 v5, 0x80000000, v58
	v_lshl_add_u32 v0, v0, 23, v5
	v_lshl_or_b32 v0, v3, 21, v0
	v_add_u32_e32 v3, 0x38000000, v0
                                        ; implicit-def: $vgpr5
                                        ; implicit-def: $vgpr27_vgpr28
.LBB0_554:                              ;   in Loop: Header=BB0_115 Depth=3
	s_andn2_saveexec_b64 s[88:89], s[88:89]
; %bb.555:                              ;   in Loop: Header=BB0_115 Depth=3
	v_cmp_lt_i64_e32 vcc, -1, v[27:28]
	v_cndmask_b32_e32 v0, v8, v54, vcc
	v_cmp_eq_u32_e32 vcc, 0, v5
	v_cndmask_b32_e32 v3, v55, v0, vcc
; %bb.556:                              ;   in Loop: Header=BB0_115 Depth=3
	s_or_b64 exec, exec, s[88:89]
.LBB0_557:                              ;   in Loop: Header=BB0_115 Depth=3
	s_or_b64 exec, exec, s[78:79]
.LBB0_558:                              ;   in Loop: Header=BB0_115 Depth=3
	s_or_b64 exec, exec, s[76:77]
	v_max_f32_e32 v0, v3, v3
	v_max_f32_e32 v2, v2, v2
	v_min_f32_e32 v2, v2, v0
.LBB0_559:                              ;   in Loop: Header=BB0_115 Depth=3
	s_or_b64 exec, exec, s[20:21]
	v_and_b32_e32 v5, 0x7f800000, v2
	v_mov_b32_e32 v6, v59
	v_cmp_ne_u64_e32 vcc, s[58:59], v[5:6]
	v_and_b32_e32 v58, 0x7fffff, v2
                                        ; implicit-def: $vgpr3
	s_and_saveexec_b64 s[20:21], vcc
	s_xor_b64 s[76:77], exec, s[20:21]
	s_cbranch_execz .LBB0_573
; %bb.560:                              ;   in Loop: Header=BB0_115 Depth=3
	v_and_b32_e32 v5, 0x7fffffff, v2
	v_mov_b32_e32 v6, v59
	v_cmp_gt_u64_e32 vcc, s[60:61], v[5:6]
	v_and_b32_sdwa v0, v2, s50 dst_sel:DWORD dst_unused:UNUSED_PAD src0_sel:BYTE_3 src1_sel:DWORD
                                        ; implicit-def: $vgpr3
	s_and_saveexec_b64 s[20:21], vcc
	s_xor_b64 s[78:79], exec, s[20:21]
	s_cbranch_execz .LBB0_570
; %bb.561:                              ;   in Loop: Header=BB0_115 Depth=3
	v_mov_b32_e32 v3, 0
	v_cmp_ne_u32_e32 vcc, 0, v2
	s_and_saveexec_b64 s[88:89], vcc
	s_cbranch_execz .LBB0_569
; %bb.562:                              ;   in Loop: Header=BB0_115 Depth=3
	v_bfe_u32 v17, v2, 23, 8
	v_cmp_gt_u32_e64 s[20:21], s51, v17
	v_sub_u32_e32 v2, 0x71, v17
	v_cmp_eq_u32_e32 vcc, 0, v17
	v_cndmask_b32_e64 v2, 0, v2, s[20:21]
	v_cndmask_b32_e32 v20, v2, v25, vcc
	v_or_b32_e32 v3, 0x800000, v58
	v_add_u32_e32 v2, 21, v20
	v_cndmask_b32_e32 v58, v3, v58, vcc
	v_lshlrev_b64 v[2:3], v2, -1
	v_add_u32_e32 v5, 20, v20
	v_lshlrev_b64 v[5:6], v5, 1
	v_bfi_b32 v3, v3, 0, 0
	v_bfi_b32 v2, v2, 0, v58
	v_cmp_eq_u64_e64 s[20:21], v[2:3], v[5:6]
	v_lshrrev_b64 v[2:3], v20, v[58:59]
	v_mov_b32_e32 v6, v3
	v_mov_b32_e32 v5, v2
	s_and_saveexec_b64 s[90:91], s[20:21]
; %bb.563:                              ;   in Loop: Header=BB0_115 Depth=3
	v_bfe_u32 v3, v2, 21, 1
	v_add_co_u32_e64 v3, s[20:21], v2, v3
	v_add_co_u32_e64 v5, s[20:21], -1, v3
; %bb.564:                              ;   in Loop: Header=BB0_115 Depth=3
	s_or_b64 exec, exec, s[90:91]
	v_add_u32_e32 v3, 0xffffff81, v17
	v_cndmask_b32_e32 v3, v3, v48, vcc
	v_lshrrev_b32_e32 v6, 23, v2
	v_add3_u32 v17, v20, v3, v6
	v_add_u32_e32 v6, 14, v17
	v_and_b32_e32 v3, 0x1fffff, v5
	v_add_u32_e32 v58, v3, v2
	v_cmp_ne_u32_e32 vcc, 0, v6
                                        ; implicit-def: $vgpr2_vgpr3
                                        ; implicit-def: $vgpr5
	s_and_saveexec_b64 s[20:21], vcc
	s_xor_b64 s[20:21], exec, s[20:21]
; %bb.565:                              ;   in Loop: Header=BB0_115 Depth=3
	v_cmp_lt_u64_e32 vcc, s[62:63], v[58:59]
	v_add_u32_e32 v2, 15, v17
	v_cndmask_b32_e32 v5, v6, v2, vcc
	v_cndmask_b32_e64 v2, 0, 1, vcc
	v_lshrrev_b64 v[2:3], v2, v[58:59]
; %bb.566:                              ;   in Loop: Header=BB0_115 Depth=3
	s_andn2_saveexec_b64 s[20:21], s[20:21]
; %bb.567:                              ;   in Loop: Header=BB0_115 Depth=3
	v_mov_b32_e32 v2, v58
	v_bfe_u32 v5, v58, 23, 1
	v_mov_b32_e32 v3, v59
; %bb.568:                              ;   in Loop: Header=BB0_115 Depth=3
	s_or_b64 exec, exec, s[20:21]
	v_lshrrev_b64 v[2:3], 21, v[2:3]
	v_cmp_gt_i32_e32 vcc, 32, v5
	v_cndmask_b32_e32 v3, 0, v3, vcc
	v_cndmask_b32_e32 v2, 3, v2, vcc
	v_cmp_eq_u64_e64 s[20:21], 0, v[2:3]
	v_min_i32_e32 v3, 31, v5
	v_lshlrev_b32_e32 v3, 2, v3
	v_cmp_eq_u32_e32 vcc, 0, v5
	v_and_b32_e32 v3, 0xfc, v3
	v_and_or_b32 v2, v2, 3, v3
	s_and_b64 s[20:21], vcc, s[20:21]
	v_cndmask_b32_e64 v2, v2, 0, s[20:21]
	v_or_b32_e32 v3, v2, v0
.LBB0_569:                              ;   in Loop: Header=BB0_115 Depth=3
	s_or_b64 exec, exec, s[88:89]
                                        ; implicit-def: $vgpr0
.LBB0_570:                              ;   in Loop: Header=BB0_115 Depth=3
	s_andn2_saveexec_b64 s[20:21], s[78:79]
; %bb.571:                              ;   in Loop: Header=BB0_115 Depth=3
	v_or_b32_e32 v3, 0x7b, v0
; %bb.572:                              ;   in Loop: Header=BB0_115 Depth=3
	s_or_b64 exec, exec, s[20:21]
                                        ; implicit-def: $vgpr2
.LBB0_573:                              ;   in Loop: Header=BB0_115 Depth=3
	s_andn2_saveexec_b64 s[20:21], s[76:77]
	s_cbranch_execz .LBB0_114
; %bb.574:                              ;   in Loop: Header=BB0_115 Depth=3
	v_cmp_ne_u64_e32 vcc, 0, v[58:59]
                                        ; implicit-def: $vgpr3
	s_and_saveexec_b64 s[76:77], vcc
	s_xor_b64 s[76:77], exec, s[76:77]
; %bb.575:                              ;   in Loop: Header=BB0_115 Depth=3
	v_or_b32_sdwa v3, v2, s52 dst_sel:DWORD dst_unused:UNUSED_PAD src0_sel:BYTE_3 src1_sel:DWORD
                                        ; implicit-def: $vgpr2
; %bb.576:                              ;   in Loop: Header=BB0_115 Depth=3
	s_andn2_saveexec_b64 s[76:77], s[76:77]
	s_cbranch_execz .LBB0_113
; %bb.577:                              ;   in Loop: Header=BB0_115 Depth=3
	v_cmp_lt_i32_e32 vcc, -1, v2
	v_cndmask_b32_e32 v3, v49, v31, vcc
	s_branch .LBB0_113
.LBB0_578:                              ;   in Loop: Header=BB0_70 Depth=2
	s_or_b64 exec, exec, s[74:75]
	buffer_load_dword v44, off, s[0:3], s32 offset:116 ; 4-byte Folded Reload
	buffer_load_dword v45, off, s[0:3], s32 offset:120 ; 4-byte Folded Reload
	;; [unrolled: 1-line block ×4, first 2 shown]
	s_or_b64 exec, exec, s[72:73]
	s_and_saveexec_b64 s[20:21], s[10:11]
	s_cbranch_execz .LBB0_107
.LBB0_579:                              ;   in Loop: Header=BB0_70 Depth=2
	s_and_saveexec_b64 s[72:73], s[42:43]
	s_xor_b64 s[72:73], exec, s[72:73]
	s_cbranch_execz .LBB0_594
; %bb.580:                              ;   in Loop: Header=BB0_70 Depth=2
	s_and_saveexec_b64 s[74:75], s[12:13]
	s_cbranch_execz .LBB0_593
; %bb.581:                              ;   in Loop: Header=BB0_70 Depth=2
	s_mov_b64 s[78:79], exec
	s_waitcnt vmcnt(0) lgkmcnt(0)
	v_mbcnt_lo_u32_b32 v0, s78, 0
	v_mbcnt_hi_u32_b32 v0, s79, v0
	v_cmp_eq_u32_e32 vcc, 0, v0
	buffer_wbinvl1_vol
	s_and_saveexec_b64 s[76:77], vcc
	s_cbranch_execz .LBB0_583
; %bb.582:                              ;   in Loop: Header=BB0_70 Depth=2
	s_bcnt1_i32_b64 s28, s[78:79]
	v_mov_b32_e32 v58, s28
	ds_add_u64 v0, v[58:59]
	s_trap 2
.LBB0_583:                              ;   in Loop: Header=BB0_70 Depth=2
	s_or_b64 exec, exec, s[76:77]
	s_trap 2
	ds_read_b64 v[2:3], v0
	s_waitcnt lgkmcnt(0)
	buffer_load_dword v0, off, s[0:3], s32 offset:128 ; 4-byte Folded Reload
	s_waitcnt vmcnt(0)
	v_add_co_u32_e32 v40, vcc, v40, v0
	v_addc_co_u32_e32 v41, vcc, 0, v41, vcc
	v_cmp_lt_u64_e32 vcc, v[2:3], v[40:41]
	s_and_saveexec_b64 s[76:77], vcc
	s_cbranch_execz .LBB0_592
; %bb.584:                              ;   in Loop: Header=BB0_70 Depth=2
	s_mov_b32 s28, 0
	s_mov_b64 s[78:79], 0
                                        ; implicit-def: $sgpr88_sgpr89
                                        ; implicit-def: $sgpr90_sgpr91
	s_branch .LBB0_586
.LBB0_585:                              ;   in Loop: Header=BB0_586 Depth=3
	s_or_b64 exec, exec, s[94:95]
	s_and_b64 s[92:93], exec, vcc
	s_or_b64 s[78:79], s[92:93], s[78:79]
	s_andn2_b64 s[88:89], s[88:89], exec
	s_and_b64 s[92:93], s[90:91], exec
	s_or_b64 s[88:89], s[88:89], s[92:93]
	s_andn2_b64 exec, exec, s[78:79]
	s_cbranch_execz .LBB0_590
.LBB0_586:                              ;   Parent Loop BB0_21 Depth=1
                                        ;     Parent Loop BB0_70 Depth=2
                                        ; =>    This Inner Loop Header: Depth=3
	s_add_i32 s28, s28, 1
	s_cmpk_lg_i32 s28, 0x2710
	s_cselect_b64 s[92:93], -1, 0
	s_and_b64 vcc, exec, s[92:93]
	s_cbranch_vccz .LBB0_588
; %bb.587:                              ;   in Loop: Header=BB0_586 Depth=3
	s_mov_b64 vcc, -1
	s_or_b64 s[90:91], s[90:91], exec
	s_and_saveexec_b64 s[94:95], s[92:93]
	s_cbranch_execz .LBB0_585
	s_branch .LBB0_589
.LBB0_588:                              ;   in Loop: Header=BB0_586 Depth=3
	s_trap 2
	ds_read_b64 v[2:3], v0
	s_andn2_b64 s[92:93], s[92:93], exec
	s_mov_b32 s28, 0
	s_waitcnt lgkmcnt(0)
	flat_load_dword v0, v[2:3] glc
	s_waitcnt vmcnt(0) lgkmcnt(0)
	buffer_wbinvl1_vol
	v_cmp_eq_u32_e32 vcc, 0, v0
	s_and_b64 s[94:95], vcc, exec
	s_or_b64 s[92:93], s[92:93], s[94:95]
	s_mov_b64 vcc, -1
	s_or_b64 s[90:91], s[90:91], exec
	s_and_saveexec_b64 s[94:95], s[92:93]
	s_cbranch_execz .LBB0_585
.LBB0_589:                              ;   in Loop: Header=BB0_586 Depth=3
	s_sleep 1
	s_trap 2
	ds_read_b64 v[2:3], v0
	s_waitcnt lgkmcnt(0)
	s_andn2_b64 s[90:91], s[90:91], exec
	v_cmp_ge_u64_e32 vcc, v[2:3], v[40:41]
	s_orn2_b64 vcc, vcc, exec
	s_branch .LBB0_585
.LBB0_590:                              ;   in Loop: Header=BB0_70 Depth=2
	s_or_b64 exec, exec, s[78:79]
	s_and_saveexec_b64 s[78:79], s[88:89]
	s_xor_b64 s[78:79], exec, s[78:79]
	s_cbranch_execz .LBB0_592
; %bb.591:                              ;   in Loop: Header=BB0_70 Depth=2
	v_mov_b32_e32 v0, 1
	ds_write_b32 v0, v0
	s_trap 2
.LBB0_592:                              ;   in Loop: Header=BB0_70 Depth=2
	s_or_b64 exec, exec, s[76:77]
	;;#ASMSTART
	s_wakeup
	;;#ASMEND
.LBB0_593:                              ;   in Loop: Header=BB0_70 Depth=2
	s_or_b64 exec, exec, s[74:75]
.LBB0_594:                              ;   in Loop: Header=BB0_70 Depth=2
	s_andn2_saveexec_b64 s[72:73], s[72:73]
	s_cbranch_execz .LBB0_596
; %bb.595:                              ;   in Loop: Header=BB0_70 Depth=2
	s_waitcnt vmcnt(0) lgkmcnt(0)
	buffer_wbinvl1_vol
	s_barrier
.LBB0_596:                              ;   in Loop: Header=BB0_70 Depth=2
	s_or_b64 exec, exec, s[72:73]
	s_or_b64 exec, exec, s[20:21]
	s_and_saveexec_b64 s[20:21], s[16:17]
	s_cbranch_execnz .LBB0_108
	s_branch .LBB0_109
.LBB0_597:                              ;   in Loop: Header=BB0_21 Depth=1
	buffer_load_dword v10, off, s[0:3], s32 offset:148 ; 4-byte Folded Reload
	v_mov_b32_e32 v21, v46
	v_mov_b32_e32 v22, v47
	s_and_saveexec_b64 s[20:21], s[18:19]
	s_cbranch_execnz .LBB0_599
	s_branch .LBB0_1084
.LBB0_598:                              ;   in Loop: Header=BB0_21 Depth=1
	buffer_load_dword v7, off, s[0:3], s32 offset:200 ; 4-byte Folded Reload
	buffer_load_dword v10, off, s[0:3], s32 offset:148 ; 4-byte Folded Reload
	v_mov_b32_e32 v21, v46
	v_mov_b32_e32 v22, v47
	s_and_saveexec_b64 s[20:21], s[18:19]
	s_cbranch_execz .LBB0_1084
.LBB0_599:                              ;   in Loop: Header=BB0_21 Depth=1
	s_waitcnt lgkmcnt(0)
	flat_load_dword v0, v[44:45]
	buffer_load_dword v17, off, s[0:3], s32 offset:204 ; 4-byte Folded Reload
	buffer_load_dword v18, off, s[0:3], s32 offset:208 ; 4-byte Folded Reload
	;; [unrolled: 1-line block ×6, first 2 shown]
	v_add_u32_e32 v30, 1, v34
	s_mov_b64 s[72:73], 0
	s_waitcnt vmcnt(0) lgkmcnt(0)
	v_ashrrev_i32_e32 v4, 31, v0
	v_mov_b32_e32 v2, v19
	v_mov_b32_e32 v3, v20
	v_add_co_u32_e32 v2, vcc, v2, v7
	v_addc_co_u32_e32 v3, vcc, v3, v10, vcc
	v_mul_lo_u32 v5, v5, v0
	v_mul_lo_u32 v4, v6, v4
	v_mad_u64_u32 v[2:3], s[18:19], v6, v0, v[2:3]
	v_add3_u32 v0, v5, v3, v4
	buffer_load_dword v3, off, s[0:3], s32 offset:152 ; 4-byte Folded Reload
	s_waitcnt vmcnt(0)
	v_add_co_u32_e32 v5, vcc, v2, v3
	v_addc_co_u32_e32 v6, vcc, 0, v0, vcc
	buffer_load_dword v0, off, s[0:3], s32 offset:228 ; 4-byte Folded Reload
	s_waitcnt vmcnt(0)
	v_add_co_u32_e32 v46, vcc, v0, v7
	buffer_load_dword v0, off, s[0:3], s32 offset:232 ; 4-byte Folded Reload
	buffer_load_dword v17, off, s[0:3], s32 offset:100 ; 4-byte Folded Reload
	;; [unrolled: 1-line block ×5, first 2 shown]
	s_waitcnt vmcnt(4)
	v_addc_co_u32_e32 v47, vcc, v0, v10, vcc
	v_and_b32_e32 v0, 7, v34
	v_mul_lo_u32 v2, v0, s38
	v_ashrrev_i32_e32 v3, 31, v2
	v_lshlrev_b64 v[2:3], 4, v[2:3]
	s_waitcnt vmcnt(3)
	v_add_co_u32_e32 v7, vcc, v17, v2
	s_waitcnt vmcnt(2)
	v_addc_co_u32_e32 v29, vcc, v18, v3, vcc
	s_branch .LBB0_601
.LBB0_600:                              ;   in Loop: Header=BB0_601 Depth=2
	v_add_co_u32_e32 v5, vcc, v5, v26
	v_addc_co_u32_e32 v6, vcc, 0, v6, vcc
	v_add_co_u32_e32 v46, vcc, v46, v26
	v_addc_co_u32_e32 v47, vcc, 0, v47, vcc
	v_sub_u32_e32 v42, v42, v26
	v_cmp_gt_i32_e32 vcc, 1, v42
	s_or_b64 s[72:73], vcc, s[72:73]
	v_add_u32_e32 v56, v56, v1
	s_andn2_b64 exec, exec, s[72:73]
	s_cbranch_execz .LBB0_1083
.LBB0_601:                              ;   Parent Loop BB0_21 Depth=1
                                        ; =>  This Loop Header: Depth=2
                                        ;       Child Loop BB0_609 Depth 3
	v_and_b32_e32 v2, -4, v5
	v_mov_b32_e32 v3, v6
	global_load_dword v0, v[2:3], off glc slc
	v_min_u32_e32 v4, 8, v42
	v_and_b32_e32 v10, 3, v5
	v_add_u32_e32 v58, v10, v4
	v_cmp_lt_u32_e32 vcc, 4, v58
	v_mov_b32_e32 v24, 0
	v_mov_b32_e32 v33, 0
	s_and_saveexec_b64 s[18:19], vcc
	s_cbranch_execz .LBB0_603
; %bb.602:                              ;   in Loop: Header=BB0_601 Depth=2
	global_load_dword v33, v[2:3], off offset:4 glc slc
.LBB0_603:                              ;   in Loop: Header=BB0_601 Depth=2
	s_or_b64 exec, exec, s[18:19]
	v_cmp_lt_u64_e32 vcc, 8, v[58:59]
	s_and_saveexec_b64 s[18:19], vcc
	s_cbranch_execz .LBB0_605
; %bb.604:                              ;   in Loop: Header=BB0_601 Depth=2
	global_load_dword v24, v[2:3], off offset:8 glc slc
.LBB0_605:                              ;   in Loop: Header=BB0_601 Depth=2
	s_or_b64 exec, exec, s[18:19]
	s_waitcnt vmcnt(0)
	v_mov_b32_e32 v57, v59
	v_lshlrev_b64 v[2:3], 4, v[56:57]
	v_add_co_u32_e32 v27, vcc, v7, v2
	v_addc_co_u32_e32 v28, vcc, v29, v3, vcc
	global_load_dwordx4 v[17:20], v[27:28], off glc slc
	v_cmp_eq_u32_e32 vcc, 0, v9
	v_mov_b32_e32 v9, 1
	s_and_saveexec_b64 s[74:75], vcc
	s_cbranch_execz .LBB0_617
; %bb.606:                              ;   in Loop: Header=BB0_601 Depth=2
	s_waitcnt vmcnt(0)
	v_cmp_ne_u32_e32 vcc, v30, v18
	v_cmp_ne_u32_e64 s[18:19], v30, v20
	s_or_b64 s[18:19], vcc, s[18:19]
	v_mov_b32_e32 v9, 0
	s_and_saveexec_b64 s[76:77], s[18:19]
	s_cbranch_execz .LBB0_616
; %bb.607:                              ;   in Loop: Header=BB0_601 Depth=2
	s_mov_b32 s28, 1
	s_mov_b64 s[88:89], 0
                                        ; implicit-def: $sgpr78_sgpr79
                                        ; implicit-def: $sgpr90_sgpr91
	s_branch .LBB0_609
.LBB0_608:                              ;   in Loop: Header=BB0_609 Depth=3
	s_or_b64 exec, exec, s[94:95]
	s_and_b64 s[18:19], exec, s[18:19]
	s_or_b64 s[88:89], s[18:19], s[88:89]
	s_andn2_b64 s[18:19], s[78:79], exec
	s_and_b64 s[78:79], s[90:91], exec
	s_or_b64 s[78:79], s[18:19], s[78:79]
	s_andn2_b64 exec, exec, s[88:89]
	s_cbranch_execz .LBB0_613
.LBB0_609:                              ;   Parent Loop BB0_21 Depth=1
                                        ;     Parent Loop BB0_601 Depth=2
                                        ; =>    This Inner Loop Header: Depth=3
	global_load_dwordx4 v[17:20], v[27:28], off glc slc
	s_add_i32 s28, s28, 1
	s_mov_b64 s[18:19], -1
	s_cmpk_lg_i32 s28, 0x2710
	s_mov_b64 s[92:93], -1
                                        ; implicit-def: $vgpr2
	s_cbranch_scc0 .LBB0_611
; %bb.610:                              ;   in Loop: Header=BB0_609 Depth=3
	s_or_b64 s[90:91], s[90:91], exec
	s_and_saveexec_b64 s[94:95], s[92:93]
	s_cbranch_execz .LBB0_608
	s_branch .LBB0_612
.LBB0_611:                              ;   in Loop: Header=BB0_609 Depth=3
	s_trap 2
	ds_read_b64 v[2:3], v0
	s_mov_b32 s28, 0
	s_waitcnt vmcnt(0) lgkmcnt(0)
	flat_load_dword v2, v[2:3] glc
	s_waitcnt vmcnt(0) lgkmcnt(0)
	buffer_wbinvl1_vol
	v_cmp_eq_u32_e32 vcc, 0, v2
	s_orn2_b64 s[92:93], vcc, exec
	s_or_b64 s[90:91], s[90:91], exec
	s_and_saveexec_b64 s[94:95], s[92:93]
	s_cbranch_execz .LBB0_608
.LBB0_612:                              ;   in Loop: Header=BB0_609 Depth=3
	s_waitcnt vmcnt(0)
	v_cmp_eq_u32_e32 vcc, v30, v18
	v_cmp_eq_u32_e64 s[18:19], v30, v20
	s_and_b64 s[18:19], vcc, s[18:19]
	s_andn2_b64 s[90:91], s[90:91], exec
	s_orn2_b64 s[18:19], s[18:19], exec
	s_branch .LBB0_608
.LBB0_613:                              ;   in Loop: Header=BB0_601 Depth=2
	s_or_b64 exec, exec, s[88:89]
	v_mov_b32_e32 v9, 0
	s_and_saveexec_b64 s[18:19], s[78:79]
	s_xor_b64 s[18:19], exec, s[18:19]
	s_cbranch_execz .LBB0_615
; %bb.614:                              ;   in Loop: Header=BB0_601 Depth=2
	v_mov_b32_e32 v9, 1
	ds_write_b32 v0, v2
	s_trap 2
.LBB0_615:                              ;   in Loop: Header=BB0_601 Depth=2
	s_or_b64 exec, exec, s[18:19]
.LBB0_616:                              ;   in Loop: Header=BB0_601 Depth=2
	s_or_b64 exec, exec, s[76:77]
.LBB0_617:                              ;   in Loop: Header=BB0_601 Depth=2
	s_or_b64 exec, exec, s[74:75]
	v_lshlrev_b32_e32 v37, 3, v5
	s_waitcnt vmcnt(0)
	v_alignbit_b32 v58, v33, v0, v37
	s_waitcnt vmcnt(0)
	v_cmp_ne_u16_sdwa s[18:19], v17, v59 src0_sel:BYTE_0 src1_sel:DWORD
                                        ; implicit-def: $vgpr4
	s_and_saveexec_b64 s[74:75], s[14:15]
	s_xor_b64 s[74:75], exec, s[74:75]
	s_cbranch_execz .LBB0_635
; %bb.618:                              ;   in Loop: Header=BB0_601 Depth=2
	v_mov_b32_e32 v2, 0
	v_mov_b32_e32 v0, 0
	s_and_saveexec_b64 s[76:77], s[18:19]
	s_cbranch_execz .LBB0_626
; %bb.619:                              ;   in Loop: Header=BB0_601 Depth=2
	v_cmp_ne_u16_sdwa s[88:89], sext(v17), s48 src0_sel:BYTE_0 src1_sel:DWORD
	v_bfrev_b32_e32 v0, 1
	s_and_saveexec_b64 s[78:79], s[88:89]
	s_cbranch_execz .LBB0_625
; %bb.620:                              ;   in Loop: Header=BB0_601 Depth=2
	v_and_b32_e32 v0, 0x7c, v17
	v_and_b32_e32 v3, 3, v17
	v_cmp_ne_u32_e32 vcc, s49, v0
                                        ; implicit-def: $vgpr0
	s_and_saveexec_b64 s[88:89], vcc
	s_xor_b64 s[88:89], exec, s[88:89]
	s_cbranch_execz .LBB0_622
; %bb.621:                              ;   in Loop: Header=BB0_601 Depth=2
	v_ffbh_u32_e32 v4, v3
	v_min_u32_e32 v4, 32, v4
	v_bfe_u32 v0, v17, 2, 5
	v_subrev_u32_e32 v10, 29, v4
	v_lshlrev_b64 v[27:28], v10, v[17:18]
	v_sub_u32_e32 v4, 30, v4
	v_cmp_eq_u32_e32 vcc, 0, v0
	v_cndmask_b32_e32 v0, v0, v4, vcc
	v_lshlrev_b32_e32 v4, 24, v17
	v_and_b32_e32 v10, 3, v27
	v_and_b32_e32 v4, 0x80000000, v4
	v_cndmask_b32_e32 v3, v3, v10, vcc
	v_lshl_add_u32 v0, v0, 23, v4
	v_lshl_or_b32 v0, v3, 21, v0
	v_add_u32_e32 v0, 0x38000000, v0
                                        ; implicit-def: $vgpr3
.LBB0_622:                              ;   in Loop: Header=BB0_601 Depth=2
	s_andn2_saveexec_b64 s[88:89], s[88:89]
; %bb.623:                              ;   in Loop: Header=BB0_601 Depth=2
	v_cmp_gt_i16_sdwa vcc, sext(v17), v43 src0_sel:BYTE_0 src1_sel:DWORD
	v_cndmask_b32_e32 v0, v8, v54, vcc
	v_cmp_eq_u32_e32 vcc, 0, v3
	v_cndmask_b32_e32 v0, v55, v0, vcc
; %bb.624:                              ;   in Loop: Header=BB0_601 Depth=2
	s_or_b64 exec, exec, s[88:89]
.LBB0_625:                              ;   in Loop: Header=BB0_601 Depth=2
	s_or_b64 exec, exec, s[78:79]
.LBB0_626:                              ;   in Loop: Header=BB0_601 Depth=2
	s_or_b64 exec, exec, s[76:77]
	v_cmp_ne_u16_sdwa s[78:79], sext(v58), v59 src0_sel:BYTE_0 src1_sel:DWORD
	s_and_saveexec_b64 s[76:77], s[78:79]
	s_cbranch_execz .LBB0_634
; %bb.627:                              ;   in Loop: Header=BB0_601 Depth=2
	v_cmp_ne_u16_sdwa s[88:89], sext(v58), s48 src0_sel:BYTE_0 src1_sel:DWORD
	v_bfrev_b32_e32 v2, 1
	s_and_saveexec_b64 s[78:79], s[88:89]
	s_cbranch_execz .LBB0_633
; %bb.628:                              ;   in Loop: Header=BB0_601 Depth=2
	v_and_b32_e32 v2, 0x7c, v58
	v_and_b32_e32 v3, 3, v58
	v_cmp_ne_u32_e32 vcc, s49, v2
                                        ; implicit-def: $vgpr2
	s_and_saveexec_b64 s[88:89], vcc
	s_xor_b64 s[88:89], exec, s[88:89]
	s_cbranch_execz .LBB0_630
; %bb.629:                              ;   in Loop: Header=BB0_601 Depth=2
	v_ffbh_u32_e32 v4, v3
	v_min_u32_e32 v4, 32, v4
	v_bfe_u32 v2, v58, 2, 5
	v_subrev_u32_e32 v10, 29, v4
	v_lshlrev_b64 v[27:28], v10, v[58:59]
	v_sub_u32_e32 v4, 30, v4
	v_cmp_eq_u32_e32 vcc, 0, v2
	v_cndmask_b32_e32 v2, v2, v4, vcc
	v_lshlrev_b32_e32 v4, 24, v58
	v_and_b32_e32 v10, 3, v27
	v_and_b32_e32 v4, 0x80000000, v4
	v_cndmask_b32_e32 v3, v3, v10, vcc
	v_lshl_add_u32 v2, v2, 23, v4
	v_lshl_or_b32 v2, v3, 21, v2
	v_add_u32_e32 v2, 0x38000000, v2
                                        ; implicit-def: $vgpr3
.LBB0_630:                              ;   in Loop: Header=BB0_601 Depth=2
	s_andn2_saveexec_b64 s[88:89], s[88:89]
; %bb.631:                              ;   in Loop: Header=BB0_601 Depth=2
	v_cmp_gt_i16_sdwa vcc, sext(v58), v43 src0_sel:BYTE_0 src1_sel:DWORD
	v_cndmask_b32_e32 v2, v8, v54, vcc
	v_cmp_eq_u32_e32 vcc, 0, v3
	v_cndmask_b32_e32 v2, v55, v2, vcc
; %bb.632:                              ;   in Loop: Header=BB0_601 Depth=2
	s_or_b64 exec, exec, s[88:89]
.LBB0_633:                              ;   in Loop: Header=BB0_601 Depth=2
	s_or_b64 exec, exec, s[78:79]
.LBB0_634:                              ;   in Loop: Header=BB0_601 Depth=2
	s_or_b64 exec, exec, s[76:77]
	v_max_f32_e32 v2, v2, v2
	v_max_f32_e32 v0, v0, v0
	;; [unrolled: 1-line block ×3, first 2 shown]
.LBB0_635:                              ;   in Loop: Header=BB0_601 Depth=2
	s_andn2_saveexec_b64 s[74:75], s[74:75]
	s_cbranch_execz .LBB0_653
; %bb.636:                              ;   in Loop: Header=BB0_601 Depth=2
	v_mov_b32_e32 v2, 0
	v_mov_b32_e32 v0, 0
	s_and_saveexec_b64 s[76:77], s[18:19]
	s_cbranch_execz .LBB0_644
; %bb.637:                              ;   in Loop: Header=BB0_601 Depth=2
	v_cmp_ne_u16_sdwa s[78:79], sext(v17), s48 src0_sel:BYTE_0 src1_sel:DWORD
	v_bfrev_b32_e32 v0, 1
	s_and_saveexec_b64 s[18:19], s[78:79]
	s_cbranch_execz .LBB0_643
; %bb.638:                              ;   in Loop: Header=BB0_601 Depth=2
	v_and_b32_e32 v0, 0x7c, v17
	v_and_b32_e32 v3, 3, v17
	v_cmp_ne_u32_e32 vcc, s49, v0
                                        ; implicit-def: $vgpr0
	s_and_saveexec_b64 s[78:79], vcc
	s_xor_b64 s[78:79], exec, s[78:79]
	s_cbranch_execz .LBB0_640
; %bb.639:                              ;   in Loop: Header=BB0_601 Depth=2
	v_ffbh_u32_e32 v4, v3
	v_min_u32_e32 v4, 32, v4
	v_bfe_u32 v0, v17, 2, 5
	v_subrev_u32_e32 v10, 29, v4
	v_lshlrev_b64 v[27:28], v10, v[17:18]
	v_sub_u32_e32 v4, 30, v4
	v_cmp_eq_u32_e32 vcc, 0, v0
	v_cndmask_b32_e32 v0, v0, v4, vcc
	v_lshlrev_b32_e32 v4, 24, v17
	v_and_b32_e32 v10, 3, v27
	v_and_b32_e32 v4, 0x80000000, v4
	v_cndmask_b32_e32 v3, v3, v10, vcc
	v_lshl_add_u32 v0, v0, 23, v4
	v_lshl_or_b32 v0, v3, 21, v0
	v_add_u32_e32 v0, 0x38000000, v0
                                        ; implicit-def: $vgpr3
.LBB0_640:                              ;   in Loop: Header=BB0_601 Depth=2
	s_andn2_saveexec_b64 s[78:79], s[78:79]
; %bb.641:                              ;   in Loop: Header=BB0_601 Depth=2
	v_cmp_gt_i16_sdwa vcc, sext(v17), v43 src0_sel:BYTE_0 src1_sel:DWORD
	v_cndmask_b32_e32 v0, v8, v54, vcc
	v_cmp_eq_u32_e32 vcc, 0, v3
	v_cndmask_b32_e32 v0, v55, v0, vcc
; %bb.642:                              ;   in Loop: Header=BB0_601 Depth=2
	s_or_b64 exec, exec, s[78:79]
.LBB0_643:                              ;   in Loop: Header=BB0_601 Depth=2
	s_or_b64 exec, exec, s[18:19]
.LBB0_644:                              ;   in Loop: Header=BB0_601 Depth=2
	s_or_b64 exec, exec, s[76:77]
	v_cmp_ne_u16_sdwa s[76:77], sext(v58), v59 src0_sel:BYTE_0 src1_sel:DWORD
	s_and_saveexec_b64 s[18:19], s[76:77]
	s_cbranch_execz .LBB0_652
; %bb.645:                              ;   in Loop: Header=BB0_601 Depth=2
	v_cmp_ne_u16_sdwa s[78:79], sext(v58), s48 src0_sel:BYTE_0 src1_sel:DWORD
	v_bfrev_b32_e32 v2, 1
	s_and_saveexec_b64 s[76:77], s[78:79]
	s_cbranch_execz .LBB0_651
; %bb.646:                              ;   in Loop: Header=BB0_601 Depth=2
	v_and_b32_e32 v2, 0x7c, v58
	v_and_b32_e32 v3, 3, v58
	v_cmp_ne_u32_e32 vcc, s49, v2
                                        ; implicit-def: $vgpr2
	s_and_saveexec_b64 s[78:79], vcc
	s_xor_b64 s[78:79], exec, s[78:79]
	s_cbranch_execz .LBB0_648
; %bb.647:                              ;   in Loop: Header=BB0_601 Depth=2
	v_ffbh_u32_e32 v4, v3
	v_min_u32_e32 v4, 32, v4
	v_bfe_u32 v2, v58, 2, 5
	v_subrev_u32_e32 v10, 29, v4
	v_lshlrev_b64 v[27:28], v10, v[58:59]
	v_sub_u32_e32 v4, 30, v4
	v_cmp_eq_u32_e32 vcc, 0, v2
	v_cndmask_b32_e32 v2, v2, v4, vcc
	v_lshlrev_b32_e32 v4, 24, v58
	v_and_b32_e32 v10, 3, v27
	v_and_b32_e32 v4, 0x80000000, v4
	v_cndmask_b32_e32 v3, v3, v10, vcc
	v_lshl_add_u32 v2, v2, 23, v4
	v_lshl_or_b32 v2, v3, 21, v2
	v_add_u32_e32 v2, 0x38000000, v2
                                        ; implicit-def: $vgpr3
.LBB0_648:                              ;   in Loop: Header=BB0_601 Depth=2
	s_andn2_saveexec_b64 s[78:79], s[78:79]
; %bb.649:                              ;   in Loop: Header=BB0_601 Depth=2
	v_cmp_gt_i16_sdwa vcc, sext(v58), v43 src0_sel:BYTE_0 src1_sel:DWORD
	v_cndmask_b32_e32 v2, v8, v54, vcc
	v_cmp_eq_u32_e32 vcc, 0, v3
	v_cndmask_b32_e32 v2, v55, v2, vcc
; %bb.650:                              ;   in Loop: Header=BB0_601 Depth=2
	s_or_b64 exec, exec, s[78:79]
.LBB0_651:                              ;   in Loop: Header=BB0_601 Depth=2
	s_or_b64 exec, exec, s[76:77]
.LBB0_652:                              ;   in Loop: Header=BB0_601 Depth=2
	s_or_b64 exec, exec, s[18:19]
	v_max_f32_e32 v2, v2, v2
	v_max_f32_e32 v0, v0, v0
	v_min_f32_e32 v4, v0, v2
.LBB0_653:                              ;   in Loop: Header=BB0_601 Depth=2
	s_or_b64 exec, exec, s[74:75]
	v_and_b32_e32 v27, 0x7f800000, v4
	v_mov_b32_e32 v28, v59
	v_cmp_ne_u64_e32 vcc, s[58:59], v[27:28]
	v_and_b32_e32 v2, 0x7fffff, v4
	v_mov_b32_e32 v3, v59
                                        ; implicit-def: $vgpr10
	s_and_saveexec_b64 s[18:19], vcc
	s_xor_b64 s[74:75], exec, s[18:19]
	s_cbranch_execz .LBB0_667
; %bb.654:                              ;   in Loop: Header=BB0_601 Depth=2
	v_and_b32_e32 v27, 0x7fffffff, v4
	v_mov_b32_e32 v28, v59
	v_cmp_gt_u64_e32 vcc, s[60:61], v[27:28]
	v_and_b32_sdwa v0, v4, s50 dst_sel:DWORD dst_unused:UNUSED_PAD src0_sel:BYTE_3 src1_sel:DWORD
                                        ; implicit-def: $vgpr10
	s_and_saveexec_b64 s[18:19], vcc
	s_xor_b64 s[76:77], exec, s[18:19]
	s_cbranch_execz .LBB0_664
; %bb.655:                              ;   in Loop: Header=BB0_601 Depth=2
	v_mov_b32_e32 v10, 0
	v_cmp_ne_u32_e32 vcc, 0, v4
	s_and_saveexec_b64 s[78:79], vcc
	s_cbranch_execz .LBB0_663
; %bb.656:                              ;   in Loop: Header=BB0_601 Depth=2
	v_bfe_u32 v10, v4, 23, 8
	v_cmp_gt_u32_e64 s[18:19], s51, v10
	v_sub_u32_e32 v4, 0x71, v10
	v_cmp_eq_u32_e32 vcc, 0, v10
	v_cndmask_b32_e64 v4, 0, v4, s[18:19]
	v_cndmask_b32_e32 v18, v4, v25, vcc
	v_add_u32_e32 v4, 21, v18
	v_or_b32_e32 v23, 0x800000, v2
	v_lshlrev_b64 v[27:28], v4, -1
	v_cndmask_b32_e32 v2, v23, v2, vcc
	v_add_u32_e32 v4, 20, v18
	v_bfi_b32 v27, v27, 0, v2
	v_lshlrev_b64 v[38:39], v4, 1
	v_lshrrev_b64 v[2:3], v18, v[2:3]
	v_bfi_b32 v28, v28, 0, 0
	v_cmp_eq_u64_e64 s[18:19], v[27:28], v[38:39]
	v_mov_b32_e32 v4, v3
	v_mov_b32_e32 v3, v2
	s_and_saveexec_b64 s[88:89], s[18:19]
; %bb.657:                              ;   in Loop: Header=BB0_601 Depth=2
	v_bfe_u32 v3, v2, 21, 1
	v_add_co_u32_e64 v3, s[18:19], v2, v3
	v_add_co_u32_e64 v3, s[18:19], -1, v3
; %bb.658:                              ;   in Loop: Header=BB0_601 Depth=2
	s_or_b64 exec, exec, s[88:89]
	v_add_u32_e32 v4, 0xffffff81, v10
	v_cndmask_b32_e32 v4, v4, v48, vcc
	v_lshrrev_b32_e32 v10, 23, v2
	v_add3_u32 v18, v18, v4, v10
	v_add_u32_e32 v10, 14, v18
	v_and_b32_e32 v3, 0x1fffff, v3
	v_add_u32_e32 v2, v3, v2
	v_mov_b32_e32 v3, v59
	v_cmp_ne_u32_e32 vcc, 0, v10
                                        ; implicit-def: $vgpr4
	s_and_saveexec_b64 s[18:19], vcc
	s_xor_b64 s[18:19], exec, s[18:19]
; %bb.659:                              ;   in Loop: Header=BB0_601 Depth=2
	v_cmp_lt_u64_e32 vcc, s[62:63], v[2:3]
	v_add_u32_e32 v4, 15, v18
	v_cndmask_b32_e32 v4, v10, v4, vcc
	v_cndmask_b32_e64 v10, 0, 1, vcc
	v_lshrrev_b64 v[2:3], v10, v[2:3]
; %bb.660:                              ;   in Loop: Header=BB0_601 Depth=2
	s_andn2_saveexec_b64 s[18:19], s[18:19]
; %bb.661:                              ;   in Loop: Header=BB0_601 Depth=2
	v_bfe_u32 v4, v2, 23, 1
; %bb.662:                              ;   in Loop: Header=BB0_601 Depth=2
	s_or_b64 exec, exec, s[18:19]
	v_lshrrev_b64 v[2:3], 21, v[2:3]
	v_cmp_gt_i32_e32 vcc, 32, v4
	v_cndmask_b32_e32 v3, 0, v3, vcc
	v_cndmask_b32_e32 v2, 3, v2, vcc
	v_cmp_eq_u64_e64 s[18:19], 0, v[2:3]
	v_min_i32_e32 v3, 31, v4
	v_lshlrev_b32_e32 v3, 2, v3
	v_cmp_eq_u32_e32 vcc, 0, v4
	v_and_b32_e32 v3, 0xfc, v3
	v_and_or_b32 v2, v2, 3, v3
	s_and_b64 s[18:19], vcc, s[18:19]
	v_cndmask_b32_e64 v2, v2, 0, s[18:19]
	v_or_b32_e32 v10, v2, v0
.LBB0_663:                              ;   in Loop: Header=BB0_601 Depth=2
	s_or_b64 exec, exec, s[78:79]
                                        ; implicit-def: $vgpr0
.LBB0_664:                              ;   in Loop: Header=BB0_601 Depth=2
	s_andn2_saveexec_b64 s[18:19], s[76:77]
; %bb.665:                              ;   in Loop: Header=BB0_601 Depth=2
	v_or_b32_e32 v10, 0x7b, v0
; %bb.666:                              ;   in Loop: Header=BB0_601 Depth=2
	s_or_b64 exec, exec, s[18:19]
                                        ; implicit-def: $vgpr4
                                        ; implicit-def: $vgpr2_vgpr3
.LBB0_667:                              ;   in Loop: Header=BB0_601 Depth=2
	s_andn2_saveexec_b64 s[18:19], s[74:75]
	s_cbranch_execz .LBB0_673
; %bb.668:                              ;   in Loop: Header=BB0_601 Depth=2
	v_cmp_ne_u64_e32 vcc, 0, v[2:3]
                                        ; implicit-def: $vgpr10
	s_and_saveexec_b64 s[74:75], vcc
	s_xor_b64 s[74:75], exec, s[74:75]
; %bb.669:                              ;   in Loop: Header=BB0_601 Depth=2
	v_or_b32_sdwa v10, v4, s52 dst_sel:DWORD dst_unused:UNUSED_PAD src0_sel:BYTE_3 src1_sel:DWORD
                                        ; implicit-def: $vgpr4
; %bb.670:                              ;   in Loop: Header=BB0_601 Depth=2
	s_andn2_saveexec_b64 s[74:75], s[74:75]
; %bb.671:                              ;   in Loop: Header=BB0_601 Depth=2
	v_cmp_lt_i32_e32 vcc, -1, v4
	v_cndmask_b32_e32 v10, v49, v31, vcc
; %bb.672:                              ;   in Loop: Header=BB0_601 Depth=2
	s_or_b64 exec, exec, s[74:75]
.LBB0_673:                              ;   in Loop: Header=BB0_601 Depth=2
	s_or_b64 exec, exec, s[18:19]
	v_lshrrev_b16_e32 v2, 8, v17
	v_lshrrev_b16_e32 v27, 8, v58
	v_cmp_ne_u16_e32 vcc, 0, v2
                                        ; implicit-def: $vgpr4
	s_and_saveexec_b64 s[18:19], s[14:15]
	s_xor_b64 s[74:75], exec, s[18:19]
	s_cbranch_execz .LBB0_691
; %bb.674:                              ;   in Loop: Header=BB0_601 Depth=2
	v_mov_b32_e32 v4, 0
	v_mov_b32_e32 v0, 0
	s_and_saveexec_b64 s[76:77], vcc
	s_cbranch_execz .LBB0_682
; %bb.675:                              ;   in Loop: Header=BB0_601 Depth=2
	v_cmp_ne_u16_e64 s[18:19], s50, v2
	v_bfrev_b32_e32 v0, 1
	s_and_saveexec_b64 s[78:79], s[18:19]
	s_cbranch_execz .LBB0_681
; %bb.676:                              ;   in Loop: Header=BB0_601 Depth=2
	v_and_b32_e32 v0, 0x7c, v2
	v_and_b32_e32 v18, 3, v2
	v_cmp_ne_u32_e64 s[18:19], s49, v0
                                        ; implicit-def: $vgpr0
	s_and_saveexec_b64 s[88:89], s[18:19]
	s_xor_b64 s[88:89], exec, s[88:89]
	s_cbranch_execz .LBB0_678
; %bb.677:                              ;   in Loop: Header=BB0_601 Depth=2
	v_ffbh_u32_e32 v23, v18
	v_min_u32_e32 v23, 32, v23
	v_mov_b32_e32 v3, v59
	v_subrev_u32_e32 v28, 29, v23
	v_bfe_u32 v0, v2, 2, 5
	v_lshlrev_b64 v[2:3], v28, v[2:3]
	v_sub_u32_e32 v3, 30, v23
	v_cmp_eq_u32_e64 s[18:19], 0, v0
	v_cndmask_b32_e64 v0, v0, v3, s[18:19]
	v_lshlrev_b32_e32 v3, 16, v17
	v_and_b32_e32 v2, 3, v2
	v_and_b32_e32 v3, 0x80000000, v3
	v_cndmask_b32_e64 v2, v18, v2, s[18:19]
	v_lshl_add_u32 v0, v0, 23, v3
	v_lshl_or_b32 v0, v2, 21, v0
	v_add_u32_e32 v0, 0x38000000, v0
                                        ; implicit-def: $vgpr18
.LBB0_678:                              ;   in Loop: Header=BB0_601 Depth=2
	s_andn2_saveexec_b64 s[88:89], s[88:89]
; %bb.679:                              ;   in Loop: Header=BB0_601 Depth=2
	v_cmp_lt_i16_e64 s[18:19], -1, v17
	v_cndmask_b32_e64 v0, v8, v54, s[18:19]
	v_cmp_eq_u32_e64 s[18:19], 0, v18
	v_cndmask_b32_e64 v0, v55, v0, s[18:19]
; %bb.680:                              ;   in Loop: Header=BB0_601 Depth=2
	s_or_b64 exec, exec, s[88:89]
.LBB0_681:                              ;   in Loop: Header=BB0_601 Depth=2
	s_or_b64 exec, exec, s[78:79]
.LBB0_682:                              ;   in Loop: Header=BB0_601 Depth=2
	s_or_b64 exec, exec, s[76:77]
	v_cmp_ne_u16_e64 s[18:19], 0, v27
	s_and_saveexec_b64 s[76:77], s[18:19]
	s_cbranch_execz .LBB0_690
; %bb.683:                              ;   in Loop: Header=BB0_601 Depth=2
	v_cmp_ne_u16_e64 s[18:19], s50, v27
	v_bfrev_b32_e32 v4, 1
	s_and_saveexec_b64 s[78:79], s[18:19]
	s_cbranch_execz .LBB0_689
; %bb.684:                              ;   in Loop: Header=BB0_601 Depth=2
	v_and_b32_e32 v3, 0x7c, v27
	v_and_b32_e32 v2, 3, v27
	v_cmp_ne_u32_e64 s[18:19], s49, v3
                                        ; implicit-def: $vgpr4
	s_and_saveexec_b64 s[88:89], s[18:19]
	s_xor_b64 s[88:89], exec, s[88:89]
	s_cbranch_execz .LBB0_686
; %bb.685:                              ;   in Loop: Header=BB0_601 Depth=2
	v_ffbh_u32_e32 v3, v2
	v_min_u32_e32 v23, 32, v3
	v_mov_b32_e32 v28, v59
	v_subrev_u32_e32 v3, 29, v23
	v_lshlrev_b64 v[3:4], v3, v[27:28]
	v_bfe_u32 v18, v27, 2, 5
	v_and_b32_e32 v3, 3, v3
	v_cmp_eq_u32_e64 s[18:19], 0, v18
	v_sub_u32_e32 v4, 30, v23
	v_cndmask_b32_e64 v2, v2, v3, s[18:19]
	v_lshlrev_b32_e32 v3, 16, v58
	v_cndmask_b32_e64 v4, v18, v4, s[18:19]
	v_and_b32_e32 v3, 0x80000000, v3
	v_lshl_add_u32 v3, v4, 23, v3
	v_lshl_or_b32 v2, v2, 21, v3
	v_add_u32_e32 v4, 0x38000000, v2
                                        ; implicit-def: $vgpr2
.LBB0_686:                              ;   in Loop: Header=BB0_601 Depth=2
	s_andn2_saveexec_b64 s[88:89], s[88:89]
; %bb.687:                              ;   in Loop: Header=BB0_601 Depth=2
	v_cmp_lt_i16_e64 s[18:19], -1, v58
	v_cndmask_b32_e64 v3, v8, v54, s[18:19]
	v_cmp_eq_u32_e64 s[18:19], 0, v2
	v_cndmask_b32_e64 v4, v55, v3, s[18:19]
; %bb.688:                              ;   in Loop: Header=BB0_601 Depth=2
	s_or_b64 exec, exec, s[88:89]
.LBB0_689:                              ;   in Loop: Header=BB0_601 Depth=2
	s_or_b64 exec, exec, s[78:79]
.LBB0_690:                              ;   in Loop: Header=BB0_601 Depth=2
	s_or_b64 exec, exec, s[76:77]
	v_max_f32_e32 v2, v4, v4
	v_max_f32_e32 v0, v0, v0
	;; [unrolled: 1-line block ×3, first 2 shown]
                                        ; implicit-def: $vgpr27
                                        ; implicit-def: $vgpr2
.LBB0_691:                              ;   in Loop: Header=BB0_601 Depth=2
	s_andn2_saveexec_b64 s[18:19], s[74:75]
	s_cbranch_execz .LBB0_709
; %bb.692:                              ;   in Loop: Header=BB0_601 Depth=2
	v_mov_b32_e32 v4, 0
	v_mov_b32_e32 v0, 0
	s_and_saveexec_b64 s[74:75], vcc
	s_cbranch_execz .LBB0_700
; %bb.693:                              ;   in Loop: Header=BB0_601 Depth=2
	v_cmp_ne_u16_e32 vcc, s50, v2
	v_bfrev_b32_e32 v0, 1
	s_and_saveexec_b64 s[76:77], vcc
	s_cbranch_execz .LBB0_699
; %bb.694:                              ;   in Loop: Header=BB0_601 Depth=2
	v_and_b32_e32 v0, 0x7c, v2
	v_and_b32_e32 v18, 3, v2
	v_cmp_ne_u32_e32 vcc, s49, v0
                                        ; implicit-def: $vgpr0
	s_and_saveexec_b64 s[78:79], vcc
	s_xor_b64 s[78:79], exec, s[78:79]
	s_cbranch_execz .LBB0_696
; %bb.695:                              ;   in Loop: Header=BB0_601 Depth=2
	v_ffbh_u32_e32 v23, v18
	v_min_u32_e32 v23, 32, v23
	v_mov_b32_e32 v3, v59
	v_subrev_u32_e32 v28, 29, v23
	v_bfe_u32 v0, v2, 2, 5
	v_lshlrev_b64 v[2:3], v28, v[2:3]
	v_sub_u32_e32 v3, 30, v23
	v_cmp_eq_u32_e32 vcc, 0, v0
	v_cndmask_b32_e32 v0, v0, v3, vcc
	v_lshlrev_b32_e32 v3, 16, v17
	v_and_b32_e32 v2, 3, v2
	v_and_b32_e32 v3, 0x80000000, v3
	v_cndmask_b32_e32 v2, v18, v2, vcc
	v_lshl_add_u32 v0, v0, 23, v3
	v_lshl_or_b32 v0, v2, 21, v0
	v_add_u32_e32 v0, 0x38000000, v0
                                        ; implicit-def: $vgpr18
.LBB0_696:                              ;   in Loop: Header=BB0_601 Depth=2
	s_andn2_saveexec_b64 s[78:79], s[78:79]
; %bb.697:                              ;   in Loop: Header=BB0_601 Depth=2
	v_cmp_lt_i16_e32 vcc, -1, v17
	v_cndmask_b32_e32 v0, v8, v54, vcc
	v_cmp_eq_u32_e32 vcc, 0, v18
	v_cndmask_b32_e32 v0, v55, v0, vcc
; %bb.698:                              ;   in Loop: Header=BB0_601 Depth=2
	s_or_b64 exec, exec, s[78:79]
.LBB0_699:                              ;   in Loop: Header=BB0_601 Depth=2
	s_or_b64 exec, exec, s[76:77]
.LBB0_700:                              ;   in Loop: Header=BB0_601 Depth=2
	s_or_b64 exec, exec, s[74:75]
	v_cmp_ne_u16_e32 vcc, 0, v27
	s_and_saveexec_b64 s[74:75], vcc
	s_cbranch_execz .LBB0_708
; %bb.701:                              ;   in Loop: Header=BB0_601 Depth=2
	v_cmp_ne_u16_e32 vcc, s50, v27
	v_bfrev_b32_e32 v4, 1
	s_and_saveexec_b64 s[76:77], vcc
	s_cbranch_execz .LBB0_707
; %bb.702:                              ;   in Loop: Header=BB0_601 Depth=2
	v_and_b32_e32 v3, 0x7c, v27
	v_and_b32_e32 v2, 3, v27
	v_cmp_ne_u32_e32 vcc, s49, v3
                                        ; implicit-def: $vgpr4
	s_and_saveexec_b64 s[78:79], vcc
	s_xor_b64 s[78:79], exec, s[78:79]
	s_cbranch_execz .LBB0_704
; %bb.703:                              ;   in Loop: Header=BB0_601 Depth=2
	v_ffbh_u32_e32 v3, v2
	v_min_u32_e32 v23, 32, v3
	v_mov_b32_e32 v28, v59
	v_subrev_u32_e32 v3, 29, v23
	v_lshlrev_b64 v[3:4], v3, v[27:28]
	v_bfe_u32 v18, v27, 2, 5
	v_and_b32_e32 v3, 3, v3
	v_cmp_eq_u32_e32 vcc, 0, v18
	v_sub_u32_e32 v4, 30, v23
	v_cndmask_b32_e32 v2, v2, v3, vcc
	v_lshlrev_b32_e32 v3, 16, v58
	v_cndmask_b32_e32 v4, v18, v4, vcc
	v_and_b32_e32 v3, 0x80000000, v3
	v_lshl_add_u32 v3, v4, 23, v3
	v_lshl_or_b32 v2, v2, 21, v3
	v_add_u32_e32 v4, 0x38000000, v2
                                        ; implicit-def: $vgpr2
.LBB0_704:                              ;   in Loop: Header=BB0_601 Depth=2
	s_andn2_saveexec_b64 s[78:79], s[78:79]
; %bb.705:                              ;   in Loop: Header=BB0_601 Depth=2
	v_cmp_lt_i16_e32 vcc, -1, v58
	v_cndmask_b32_e32 v3, v8, v54, vcc
	v_cmp_eq_u32_e32 vcc, 0, v2
	v_cndmask_b32_e32 v4, v55, v3, vcc
; %bb.706:                              ;   in Loop: Header=BB0_601 Depth=2
	s_or_b64 exec, exec, s[78:79]
.LBB0_707:                              ;   in Loop: Header=BB0_601 Depth=2
	s_or_b64 exec, exec, s[76:77]
.LBB0_708:                              ;   in Loop: Header=BB0_601 Depth=2
	s_or_b64 exec, exec, s[74:75]
	v_max_f32_e32 v2, v4, v4
	v_max_f32_e32 v0, v0, v0
	v_min_f32_e32 v4, v0, v2
.LBB0_709:                              ;   in Loop: Header=BB0_601 Depth=2
	s_or_b64 exec, exec, s[18:19]
	v_and_b32_e32 v27, 0x7f800000, v4
	v_mov_b32_e32 v28, v59
	v_cmp_ne_u64_e32 vcc, s[58:59], v[27:28]
	v_and_b32_e32 v2, 0x7fffff, v4
	v_mov_b32_e32 v3, v59
                                        ; implicit-def: $vgpr32
	s_and_saveexec_b64 s[18:19], vcc
	s_xor_b64 s[74:75], exec, s[18:19]
	s_cbranch_execz .LBB0_723
; %bb.710:                              ;   in Loop: Header=BB0_601 Depth=2
	v_and_b32_e32 v27, 0x7fffffff, v4
	v_mov_b32_e32 v28, v59
	v_cmp_gt_u64_e32 vcc, s[60:61], v[27:28]
	v_and_b32_sdwa v0, v4, s50 dst_sel:DWORD dst_unused:UNUSED_PAD src0_sel:BYTE_3 src1_sel:DWORD
                                        ; implicit-def: $vgpr32
	s_and_saveexec_b64 s[18:19], vcc
	s_xor_b64 s[76:77], exec, s[18:19]
	s_cbranch_execz .LBB0_720
; %bb.711:                              ;   in Loop: Header=BB0_601 Depth=2
	v_mov_b32_e32 v32, 0
	v_cmp_ne_u32_e32 vcc, 0, v4
	s_and_saveexec_b64 s[78:79], vcc
	s_cbranch_execz .LBB0_719
; %bb.712:                              ;   in Loop: Header=BB0_601 Depth=2
	v_bfe_u32 v18, v4, 23, 8
	v_cmp_gt_u32_e64 s[18:19], s51, v18
	v_sub_u32_e32 v4, 0x71, v18
	v_cmp_eq_u32_e32 vcc, 0, v18
	v_cndmask_b32_e64 v4, 0, v4, s[18:19]
	v_cndmask_b32_e32 v23, v4, v25, vcc
	v_or_b32_e32 v27, 0x800000, v2
	v_add_u32_e32 v4, 21, v23
	v_cndmask_b32_e32 v2, v27, v2, vcc
	v_lshlrev_b64 v[27:28], v4, -1
	v_add_u32_e32 v4, 20, v23
	v_bfi_b32 v27, v27, 0, v2
	v_lshlrev_b64 v[38:39], v4, 1
	v_lshrrev_b64 v[2:3], v23, v[2:3]
	v_bfi_b32 v28, v28, 0, 0
	v_cmp_eq_u64_e64 s[18:19], v[27:28], v[38:39]
	v_mov_b32_e32 v4, v3
	v_mov_b32_e32 v3, v2
	s_and_saveexec_b64 s[88:89], s[18:19]
; %bb.713:                              ;   in Loop: Header=BB0_601 Depth=2
	v_bfe_u32 v3, v2, 21, 1
	v_add_co_u32_e64 v3, s[18:19], v2, v3
	v_add_co_u32_e64 v3, s[18:19], -1, v3
; %bb.714:                              ;   in Loop: Header=BB0_601 Depth=2
	s_or_b64 exec, exec, s[88:89]
	v_add_u32_e32 v4, 0xffffff81, v18
	v_cndmask_b32_e32 v4, v4, v48, vcc
	v_lshrrev_b32_e32 v18, 23, v2
	v_add3_u32 v23, v23, v4, v18
	v_add_u32_e32 v18, 14, v23
	v_and_b32_e32 v3, 0x1fffff, v3
	v_add_u32_e32 v2, v3, v2
	v_mov_b32_e32 v3, v59
	v_cmp_ne_u32_e32 vcc, 0, v18
                                        ; implicit-def: $vgpr4
	s_and_saveexec_b64 s[18:19], vcc
	s_xor_b64 s[18:19], exec, s[18:19]
; %bb.715:                              ;   in Loop: Header=BB0_601 Depth=2
	v_cmp_lt_u64_e32 vcc, s[62:63], v[2:3]
	v_add_u32_e32 v4, 15, v23
	v_cndmask_b32_e32 v4, v18, v4, vcc
	v_cndmask_b32_e64 v18, 0, 1, vcc
	v_lshrrev_b64 v[2:3], v18, v[2:3]
; %bb.716:                              ;   in Loop: Header=BB0_601 Depth=2
	s_andn2_saveexec_b64 s[18:19], s[18:19]
; %bb.717:                              ;   in Loop: Header=BB0_601 Depth=2
	v_bfe_u32 v4, v2, 23, 1
; %bb.718:                              ;   in Loop: Header=BB0_601 Depth=2
	s_or_b64 exec, exec, s[18:19]
	v_lshrrev_b64 v[2:3], 21, v[2:3]
	v_cmp_gt_i32_e32 vcc, 32, v4
	v_cndmask_b32_e32 v3, 0, v3, vcc
	v_cndmask_b32_e32 v2, 3, v2, vcc
	v_cmp_eq_u64_e64 s[18:19], 0, v[2:3]
	v_min_i32_e32 v3, 31, v4
	v_lshlrev_b32_e32 v3, 2, v3
	v_cmp_eq_u32_e32 vcc, 0, v4
	v_and_b32_e32 v3, 0xfc, v3
	v_and_or_b32 v2, v2, 3, v3
	s_and_b64 s[18:19], vcc, s[18:19]
	v_cndmask_b32_e64 v2, v2, 0, s[18:19]
	v_or_b32_e32 v32, v2, v0
.LBB0_719:                              ;   in Loop: Header=BB0_601 Depth=2
	s_or_b64 exec, exec, s[78:79]
                                        ; implicit-def: $vgpr0
.LBB0_720:                              ;   in Loop: Header=BB0_601 Depth=2
	s_andn2_saveexec_b64 s[18:19], s[76:77]
; %bb.721:                              ;   in Loop: Header=BB0_601 Depth=2
	v_or_b32_e32 v32, 0x7b, v0
; %bb.722:                              ;   in Loop: Header=BB0_601 Depth=2
	s_or_b64 exec, exec, s[18:19]
                                        ; implicit-def: $vgpr4
                                        ; implicit-def: $vgpr2_vgpr3
.LBB0_723:                              ;   in Loop: Header=BB0_601 Depth=2
	s_andn2_saveexec_b64 s[18:19], s[74:75]
	s_cbranch_execz .LBB0_729
; %bb.724:                              ;   in Loop: Header=BB0_601 Depth=2
	v_cmp_ne_u64_e32 vcc, 0, v[2:3]
                                        ; implicit-def: $vgpr32
	s_and_saveexec_b64 s[74:75], vcc
	s_xor_b64 s[74:75], exec, s[74:75]
; %bb.725:                              ;   in Loop: Header=BB0_601 Depth=2
	v_or_b32_sdwa v32, v4, s52 dst_sel:DWORD dst_unused:UNUSED_PAD src0_sel:BYTE_3 src1_sel:DWORD
                                        ; implicit-def: $vgpr4
; %bb.726:                              ;   in Loop: Header=BB0_601 Depth=2
	s_andn2_saveexec_b64 s[74:75], s[74:75]
; %bb.727:                              ;   in Loop: Header=BB0_601 Depth=2
	v_cmp_lt_i32_e32 vcc, -1, v4
	v_cndmask_b32_e32 v32, v49, v31, vcc
; %bb.728:                              ;   in Loop: Header=BB0_601 Depth=2
	s_or_b64 exec, exec, s[74:75]
.LBB0_729:                              ;   in Loop: Header=BB0_601 Depth=2
	s_or_b64 exec, exec, s[18:19]
	v_lshrrev_b32_e32 v18, 16, v17
	v_lshrrev_b32_e32 v0, 16, v58
	v_cmp_ne_u16_sdwa s[18:19], v18, v59 src0_sel:BYTE_0 src1_sel:DWORD
                                        ; implicit-def: $vgpr4
	s_and_saveexec_b64 s[74:75], s[14:15]
	s_xor_b64 s[74:75], exec, s[74:75]
	s_cbranch_execz .LBB0_747
; %bb.730:                              ;   in Loop: Header=BB0_601 Depth=2
	v_mov_b32_e32 v3, 0
	v_mov_b32_e32 v2, 0
	s_and_saveexec_b64 s[76:77], s[18:19]
	s_cbranch_execz .LBB0_738
; %bb.731:                              ;   in Loop: Header=BB0_601 Depth=2
	v_cmp_ne_u16_sdwa s[88:89], v18, s50 src0_sel:BYTE_0 src1_sel:DWORD
	v_bfrev_b32_e32 v2, 1
	s_and_saveexec_b64 s[78:79], s[88:89]
	s_cbranch_execz .LBB0_737
; %bb.732:                              ;   in Loop: Header=BB0_601 Depth=2
	v_and_b32_e32 v2, 0x7c0000, v17
	v_bfe_u32 v4, v17, 16, 2
	v_cmp_ne_u32_e32 vcc, s53, v2
                                        ; implicit-def: $vgpr2
	s_and_saveexec_b64 s[88:89], vcc
	s_xor_b64 s[88:89], exec, s[88:89]
	s_cbranch_execz .LBB0_734
; %bb.733:                              ;   in Loop: Header=BB0_601 Depth=2
	v_ffbh_u32_e32 v23, v4
	v_min_u32_e32 v23, 32, v23
	v_subrev_u32_e32 v27, 29, v23
	v_bfe_u32 v2, v17, 18, 5
	v_lshlrev_b64 v[27:28], v27, v[18:19]
	v_sub_u32_e32 v23, 30, v23
	v_cmp_eq_u32_e32 vcc, 0, v2
	v_lshlrev_b32_e32 v18, 24, v18
	v_and_b32_e32 v27, 3, v27
	v_cndmask_b32_e32 v2, v2, v23, vcc
	v_and_b32_e32 v18, 0x80000000, v18
	v_cndmask_b32_e32 v4, v4, v27, vcc
	v_lshl_add_u32 v2, v2, 23, v18
	v_lshl_or_b32 v2, v4, 21, v2
	v_add_u32_e32 v2, 0x38000000, v2
                                        ; implicit-def: $vgpr4
                                        ; implicit-def: $vgpr18
.LBB0_734:                              ;   in Loop: Header=BB0_601 Depth=2
	s_andn2_saveexec_b64 s[88:89], s[88:89]
; %bb.735:                              ;   in Loop: Header=BB0_601 Depth=2
	v_cmp_gt_i16_sdwa vcc, sext(v18), v43 src0_sel:BYTE_0 src1_sel:DWORD
	v_cndmask_b32_e32 v2, v8, v54, vcc
	v_cmp_eq_u32_e32 vcc, 0, v4
	v_cndmask_b32_e32 v2, v55, v2, vcc
; %bb.736:                              ;   in Loop: Header=BB0_601 Depth=2
	s_or_b64 exec, exec, s[88:89]
.LBB0_737:                              ;   in Loop: Header=BB0_601 Depth=2
	s_or_b64 exec, exec, s[78:79]
.LBB0_738:                              ;   in Loop: Header=BB0_601 Depth=2
	s_or_b64 exec, exec, s[76:77]
	v_and_b32_sdwa v18, v58, s39 dst_sel:DWORD dst_unused:UNUSED_PAD src0_sel:WORD_1 src1_sel:DWORD
	v_lshrrev_b32_e32 v4, 16, v58
	v_cmp_ne_u16_e32 vcc, 0, v18
	s_and_saveexec_b64 s[76:77], vcc
	s_cbranch_execz .LBB0_746
; %bb.739:                              ;   in Loop: Header=BB0_601 Depth=2
	v_cmp_ne_u16_e32 vcc, s50, v18
	v_bfrev_b32_e32 v3, 1
	s_and_saveexec_b64 s[78:79], vcc
	s_cbranch_execz .LBB0_745
; %bb.740:                              ;   in Loop: Header=BB0_601 Depth=2
	v_and_b32_e32 v3, 0x7c0000, v58
	v_bfe_u32 v18, v58, 16, 2
	v_cmp_ne_u32_e32 vcc, s53, v3
                                        ; implicit-def: $vgpr3
	s_and_saveexec_b64 s[88:89], vcc
	s_xor_b64 s[88:89], exec, s[88:89]
	s_cbranch_execz .LBB0_742
; %bb.741:                              ;   in Loop: Header=BB0_601 Depth=2
	v_ffbh_u32_e32 v3, v18
	v_min_u32_e32 v27, 32, v3
	v_subrev_u32_e32 v3, 29, v27
	v_bfe_u32 v23, v58, 18, 5
	v_lshlrev_b64 v[3:4], v3, v[0:1]
	v_sub_u32_e32 v4, 30, v27
	v_cmp_eq_u32_e32 vcc, 0, v23
	v_lshlrev_b32_e32 v0, 24, v0
	v_and_b32_e32 v3, 3, v3
	v_cndmask_b32_e32 v4, v23, v4, vcc
	v_and_b32_e32 v0, 0x80000000, v0
	v_cndmask_b32_e32 v3, v18, v3, vcc
	v_lshl_add_u32 v0, v4, 23, v0
	v_lshl_or_b32 v0, v3, 21, v0
	v_add_u32_e32 v3, 0x38000000, v0
                                        ; implicit-def: $vgpr18
                                        ; implicit-def: $vgpr4
.LBB0_742:                              ;   in Loop: Header=BB0_601 Depth=2
	s_andn2_saveexec_b64 s[88:89], s[88:89]
; %bb.743:                              ;   in Loop: Header=BB0_601 Depth=2
	v_cmp_gt_i16_sdwa vcc, sext(v4), v43 src0_sel:BYTE_0 src1_sel:DWORD
	v_cndmask_b32_e32 v0, v8, v54, vcc
	v_cmp_eq_u32_e32 vcc, 0, v18
	v_cndmask_b32_e32 v3, v55, v0, vcc
; %bb.744:                              ;   in Loop: Header=BB0_601 Depth=2
	s_or_b64 exec, exec, s[88:89]
.LBB0_745:                              ;   in Loop: Header=BB0_601 Depth=2
	s_or_b64 exec, exec, s[78:79]
.LBB0_746:                              ;   in Loop: Header=BB0_601 Depth=2
	s_or_b64 exec, exec, s[76:77]
	v_max_f32_e32 v0, v3, v3
	v_max_f32_e32 v2, v2, v2
	;; [unrolled: 1-line block ×3, first 2 shown]
                                        ; implicit-def: $vgpr18
                                        ; implicit-def: $vgpr0
.LBB0_747:                              ;   in Loop: Header=BB0_601 Depth=2
	s_andn2_saveexec_b64 s[74:75], s[74:75]
	s_cbranch_execz .LBB0_765
; %bb.748:                              ;   in Loop: Header=BB0_601 Depth=2
	v_mov_b32_e32 v3, 0
	v_mov_b32_e32 v2, 0
	s_and_saveexec_b64 s[76:77], s[18:19]
	s_cbranch_execz .LBB0_756
; %bb.749:                              ;   in Loop: Header=BB0_601 Depth=2
	v_cmp_ne_u16_sdwa s[78:79], v18, s50 src0_sel:BYTE_0 src1_sel:DWORD
	v_bfrev_b32_e32 v2, 1
	s_and_saveexec_b64 s[18:19], s[78:79]
	s_cbranch_execz .LBB0_755
; %bb.750:                              ;   in Loop: Header=BB0_601 Depth=2
	v_and_b32_e32 v2, 0x7c0000, v17
	v_bfe_u32 v4, v17, 16, 2
	v_cmp_ne_u32_e32 vcc, s53, v2
                                        ; implicit-def: $vgpr2
	s_and_saveexec_b64 s[78:79], vcc
	s_xor_b64 s[78:79], exec, s[78:79]
	s_cbranch_execz .LBB0_752
; %bb.751:                              ;   in Loop: Header=BB0_601 Depth=2
	v_ffbh_u32_e32 v23, v4
	v_min_u32_e32 v23, 32, v23
	v_subrev_u32_e32 v27, 29, v23
	v_bfe_u32 v2, v17, 18, 5
	v_lshlrev_b64 v[27:28], v27, v[18:19]
	v_sub_u32_e32 v23, 30, v23
	v_cmp_eq_u32_e32 vcc, 0, v2
	v_lshlrev_b32_e32 v18, 24, v18
	v_and_b32_e32 v27, 3, v27
	v_cndmask_b32_e32 v2, v2, v23, vcc
	v_and_b32_e32 v18, 0x80000000, v18
	v_cndmask_b32_e32 v4, v4, v27, vcc
	v_lshl_add_u32 v2, v2, 23, v18
	v_lshl_or_b32 v2, v4, 21, v2
	v_add_u32_e32 v2, 0x38000000, v2
                                        ; implicit-def: $vgpr4
                                        ; implicit-def: $vgpr18
.LBB0_752:                              ;   in Loop: Header=BB0_601 Depth=2
	s_andn2_saveexec_b64 s[78:79], s[78:79]
; %bb.753:                              ;   in Loop: Header=BB0_601 Depth=2
	v_cmp_gt_i16_sdwa vcc, sext(v18), v43 src0_sel:BYTE_0 src1_sel:DWORD
	v_cndmask_b32_e32 v2, v8, v54, vcc
	v_cmp_eq_u32_e32 vcc, 0, v4
	v_cndmask_b32_e32 v2, v55, v2, vcc
; %bb.754:                              ;   in Loop: Header=BB0_601 Depth=2
	s_or_b64 exec, exec, s[78:79]
.LBB0_755:                              ;   in Loop: Header=BB0_601 Depth=2
	s_or_b64 exec, exec, s[18:19]
.LBB0_756:                              ;   in Loop: Header=BB0_601 Depth=2
	s_or_b64 exec, exec, s[76:77]
	v_and_b32_sdwa v18, v58, s39 dst_sel:DWORD dst_unused:UNUSED_PAD src0_sel:WORD_1 src1_sel:DWORD
	v_lshrrev_b32_e32 v4, 16, v58
	v_cmp_ne_u16_e32 vcc, 0, v18
	s_and_saveexec_b64 s[18:19], vcc
	s_cbranch_execz .LBB0_764
; %bb.757:                              ;   in Loop: Header=BB0_601 Depth=2
	v_cmp_ne_u16_e32 vcc, s50, v18
	v_bfrev_b32_e32 v3, 1
	s_and_saveexec_b64 s[76:77], vcc
	s_cbranch_execz .LBB0_763
; %bb.758:                              ;   in Loop: Header=BB0_601 Depth=2
	v_and_b32_e32 v3, 0x7c0000, v58
	v_bfe_u32 v18, v58, 16, 2
	v_cmp_ne_u32_e32 vcc, s53, v3
                                        ; implicit-def: $vgpr3
	s_and_saveexec_b64 s[78:79], vcc
	s_xor_b64 s[78:79], exec, s[78:79]
	s_cbranch_execz .LBB0_760
; %bb.759:                              ;   in Loop: Header=BB0_601 Depth=2
	v_ffbh_u32_e32 v3, v18
	v_min_u32_e32 v27, 32, v3
	v_subrev_u32_e32 v3, 29, v27
	v_bfe_u32 v23, v58, 18, 5
	v_lshlrev_b64 v[3:4], v3, v[0:1]
	v_sub_u32_e32 v4, 30, v27
	v_cmp_eq_u32_e32 vcc, 0, v23
	v_lshlrev_b32_e32 v0, 24, v0
	v_and_b32_e32 v3, 3, v3
	v_cndmask_b32_e32 v4, v23, v4, vcc
	v_and_b32_e32 v0, 0x80000000, v0
	v_cndmask_b32_e32 v3, v18, v3, vcc
	v_lshl_add_u32 v0, v4, 23, v0
	v_lshl_or_b32 v0, v3, 21, v0
	v_add_u32_e32 v3, 0x38000000, v0
                                        ; implicit-def: $vgpr18
                                        ; implicit-def: $vgpr4
.LBB0_760:                              ;   in Loop: Header=BB0_601 Depth=2
	s_andn2_saveexec_b64 s[78:79], s[78:79]
; %bb.761:                              ;   in Loop: Header=BB0_601 Depth=2
	v_cmp_gt_i16_sdwa vcc, sext(v4), v43 src0_sel:BYTE_0 src1_sel:DWORD
	v_cndmask_b32_e32 v0, v8, v54, vcc
	v_cmp_eq_u32_e32 vcc, 0, v18
	v_cndmask_b32_e32 v3, v55, v0, vcc
; %bb.762:                              ;   in Loop: Header=BB0_601 Depth=2
	s_or_b64 exec, exec, s[78:79]
.LBB0_763:                              ;   in Loop: Header=BB0_601 Depth=2
	s_or_b64 exec, exec, s[76:77]
.LBB0_764:                              ;   in Loop: Header=BB0_601 Depth=2
	s_or_b64 exec, exec, s[18:19]
	v_max_f32_e32 v0, v3, v3
	v_max_f32_e32 v2, v2, v2
	v_min_f32_e32 v4, v2, v0
.LBB0_765:                              ;   in Loop: Header=BB0_601 Depth=2
	s_or_b64 exec, exec, s[74:75]
	v_and_b32_e32 v27, 0x7f800000, v4
	v_mov_b32_e32 v28, v59
	v_cmp_ne_u64_e32 vcc, s[58:59], v[27:28]
	v_and_b32_e32 v2, 0x7fffff, v4
	v_mov_b32_e32 v3, v59
                                        ; implicit-def: $vgpr23
	s_and_saveexec_b64 s[18:19], vcc
	s_xor_b64 s[74:75], exec, s[18:19]
	s_cbranch_execz .LBB0_779
; %bb.766:                              ;   in Loop: Header=BB0_601 Depth=2
	v_and_b32_e32 v27, 0x7fffffff, v4
	v_mov_b32_e32 v28, v59
	v_cmp_gt_u64_e32 vcc, s[60:61], v[27:28]
	v_and_b32_sdwa v0, v4, s50 dst_sel:DWORD dst_unused:UNUSED_PAD src0_sel:BYTE_3 src1_sel:DWORD
                                        ; implicit-def: $vgpr23
	s_and_saveexec_b64 s[18:19], vcc
	s_xor_b64 s[76:77], exec, s[18:19]
	s_cbranch_execz .LBB0_776
; %bb.767:                              ;   in Loop: Header=BB0_601 Depth=2
	v_mov_b32_e32 v23, 0
	v_cmp_ne_u32_e32 vcc, 0, v4
	s_and_saveexec_b64 s[78:79], vcc
	s_cbranch_execz .LBB0_775
; %bb.768:                              ;   in Loop: Header=BB0_601 Depth=2
	v_bfe_u32 v18, v4, 23, 8
	v_cmp_gt_u32_e64 s[18:19], s51, v18
	v_sub_u32_e32 v4, 0x71, v18
	v_cmp_eq_u32_e32 vcc, 0, v18
	v_cndmask_b32_e64 v4, 0, v4, s[18:19]
	v_cndmask_b32_e32 v23, v4, v25, vcc
	v_or_b32_e32 v27, 0x800000, v2
	v_add_u32_e32 v4, 21, v23
	v_cndmask_b32_e32 v2, v27, v2, vcc
	v_lshlrev_b64 v[27:28], v4, -1
	v_add_u32_e32 v4, 20, v23
	v_bfi_b32 v27, v27, 0, v2
	v_lshlrev_b64 v[38:39], v4, 1
	v_lshrrev_b64 v[2:3], v23, v[2:3]
	v_bfi_b32 v28, v28, 0, 0
	v_cmp_eq_u64_e64 s[18:19], v[27:28], v[38:39]
	v_mov_b32_e32 v4, v3
	v_mov_b32_e32 v3, v2
	s_and_saveexec_b64 s[88:89], s[18:19]
; %bb.769:                              ;   in Loop: Header=BB0_601 Depth=2
	v_bfe_u32 v3, v2, 21, 1
	v_add_co_u32_e64 v3, s[18:19], v2, v3
	v_add_co_u32_e64 v3, s[18:19], -1, v3
; %bb.770:                              ;   in Loop: Header=BB0_601 Depth=2
	s_or_b64 exec, exec, s[88:89]
	v_add_u32_e32 v4, 0xffffff81, v18
	v_cndmask_b32_e32 v4, v4, v48, vcc
	v_lshrrev_b32_e32 v18, 23, v2
	v_add3_u32 v23, v23, v4, v18
	v_add_u32_e32 v18, 14, v23
	v_and_b32_e32 v3, 0x1fffff, v3
	v_add_u32_e32 v2, v3, v2
	v_mov_b32_e32 v3, v59
	v_cmp_ne_u32_e32 vcc, 0, v18
                                        ; implicit-def: $vgpr4
	s_and_saveexec_b64 s[18:19], vcc
	s_xor_b64 s[18:19], exec, s[18:19]
; %bb.771:                              ;   in Loop: Header=BB0_601 Depth=2
	v_cmp_lt_u64_e32 vcc, s[62:63], v[2:3]
	v_add_u32_e32 v4, 15, v23
	v_cndmask_b32_e32 v4, v18, v4, vcc
	v_cndmask_b32_e64 v18, 0, 1, vcc
	v_lshrrev_b64 v[2:3], v18, v[2:3]
; %bb.772:                              ;   in Loop: Header=BB0_601 Depth=2
	s_andn2_saveexec_b64 s[18:19], s[18:19]
; %bb.773:                              ;   in Loop: Header=BB0_601 Depth=2
	v_bfe_u32 v4, v2, 23, 1
; %bb.774:                              ;   in Loop: Header=BB0_601 Depth=2
	s_or_b64 exec, exec, s[18:19]
	v_lshrrev_b64 v[2:3], 21, v[2:3]
	v_cmp_gt_i32_e32 vcc, 32, v4
	v_cndmask_b32_e32 v3, 0, v3, vcc
	v_cndmask_b32_e32 v2, 3, v2, vcc
	v_cmp_eq_u64_e64 s[18:19], 0, v[2:3]
	v_min_i32_e32 v3, 31, v4
	v_lshlrev_b32_e32 v3, 2, v3
	v_cmp_eq_u32_e32 vcc, 0, v4
	v_and_b32_e32 v3, 0xfc, v3
	v_and_or_b32 v2, v2, 3, v3
	s_and_b64 s[18:19], vcc, s[18:19]
	v_cndmask_b32_e64 v2, v2, 0, s[18:19]
	v_or_b32_e32 v23, v2, v0
.LBB0_775:                              ;   in Loop: Header=BB0_601 Depth=2
	s_or_b64 exec, exec, s[78:79]
                                        ; implicit-def: $vgpr0
.LBB0_776:                              ;   in Loop: Header=BB0_601 Depth=2
	s_andn2_saveexec_b64 s[18:19], s[76:77]
; %bb.777:                              ;   in Loop: Header=BB0_601 Depth=2
	v_or_b32_e32 v23, 0x7b, v0
; %bb.778:                              ;   in Loop: Header=BB0_601 Depth=2
	s_or_b64 exec, exec, s[18:19]
                                        ; implicit-def: $vgpr4
                                        ; implicit-def: $vgpr2_vgpr3
.LBB0_779:                              ;   in Loop: Header=BB0_601 Depth=2
	s_andn2_saveexec_b64 s[18:19], s[74:75]
	s_cbranch_execz .LBB0_785
; %bb.780:                              ;   in Loop: Header=BB0_601 Depth=2
	v_cmp_ne_u64_e32 vcc, 0, v[2:3]
                                        ; implicit-def: $vgpr23
	s_and_saveexec_b64 s[74:75], vcc
	s_xor_b64 s[74:75], exec, s[74:75]
; %bb.781:                              ;   in Loop: Header=BB0_601 Depth=2
	v_or_b32_sdwa v23, v4, s52 dst_sel:DWORD dst_unused:UNUSED_PAD src0_sel:BYTE_3 src1_sel:DWORD
                                        ; implicit-def: $vgpr4
; %bb.782:                              ;   in Loop: Header=BB0_601 Depth=2
	s_andn2_saveexec_b64 s[74:75], s[74:75]
; %bb.783:                              ;   in Loop: Header=BB0_601 Depth=2
	v_cmp_lt_i32_e32 vcc, -1, v4
	v_cndmask_b32_e32 v23, v49, v31, vcc
; %bb.784:                              ;   in Loop: Header=BB0_601 Depth=2
	s_or_b64 exec, exec, s[74:75]
.LBB0_785:                              ;   in Loop: Header=BB0_601 Depth=2
	s_or_b64 exec, exec, s[18:19]
	v_lshrrev_b32_e32 v18, 24, v17
	v_lshrrev_b32_e32 v0, 24, v58
	v_cmp_lt_u32_e32 vcc, s57, v17
                                        ; implicit-def: $vgpr2
	s_and_saveexec_b64 s[18:19], s[14:15]
	s_xor_b64 s[74:75], exec, s[18:19]
	s_cbranch_execz .LBB0_803
; %bb.786:                              ;   in Loop: Header=BB0_601 Depth=2
	v_mov_b32_e32 v3, 0
	v_mov_b32_e32 v2, 0
	s_and_saveexec_b64 s[76:77], vcc
	s_cbranch_execz .LBB0_794
; %bb.787:                              ;   in Loop: Header=BB0_601 Depth=2
	v_cmp_ne_u32_e64 s[18:19], s50, v18
	v_bfrev_b32_e32 v2, 1
	s_and_saveexec_b64 s[78:79], s[18:19]
	s_cbranch_execz .LBB0_793
; %bb.788:                              ;   in Loop: Header=BB0_601 Depth=2
	v_and_b32_e32 v2, 0x7c000000, v17
	v_bfe_u32 v4, v17, 24, 2
	v_cmp_ne_u32_e64 s[18:19], s54, v2
                                        ; implicit-def: $vgpr2
	s_and_saveexec_b64 s[88:89], s[18:19]
	s_xor_b64 s[88:89], exec, s[88:89]
	s_cbranch_execz .LBB0_790
; %bb.789:                              ;   in Loop: Header=BB0_601 Depth=2
	v_ffbh_u32_e32 v27, v4
	v_min_u32_e32 v36, 32, v27
	v_subrev_u32_e32 v27, 29, v36
	v_bfe_u32 v2, v17, 26, 5
	v_lshlrev_b64 v[27:28], v27, v[18:19]
	v_sub_u32_e32 v18, 30, v36
	v_cmp_eq_u32_e64 s[18:19], 0, v2
	v_and_b32_e32 v27, 3, v27
	v_cndmask_b32_e64 v2, v2, v18, s[18:19]
	v_and_b32_e32 v17, 0x80000000, v17
	v_cndmask_b32_e64 v4, v4, v27, s[18:19]
	v_lshl_add_u32 v2, v2, 23, v17
	v_lshl_or_b32 v2, v4, 21, v2
	v_add_u32_e32 v2, 0x38000000, v2
                                        ; implicit-def: $vgpr4
.LBB0_790:                              ;   in Loop: Header=BB0_601 Depth=2
	s_andn2_saveexec_b64 s[88:89], s[88:89]
; %bb.791:                              ;   in Loop: Header=BB0_601 Depth=2
	v_cmp_lt_i32_e64 s[18:19], -1, v17
	v_cndmask_b32_e64 v2, v8, v54, s[18:19]
	v_cmp_eq_u32_e64 s[18:19], 0, v4
	v_cndmask_b32_e64 v2, v55, v2, s[18:19]
; %bb.792:                              ;   in Loop: Header=BB0_601 Depth=2
	s_or_b64 exec, exec, s[88:89]
.LBB0_793:                              ;   in Loop: Header=BB0_601 Depth=2
	s_or_b64 exec, exec, s[78:79]
.LBB0_794:                              ;   in Loop: Header=BB0_601 Depth=2
	s_or_b64 exec, exec, s[76:77]
	v_cmp_lt_u32_e64 s[18:19], s57, v58
	s_and_saveexec_b64 s[76:77], s[18:19]
	s_cbranch_execz .LBB0_802
; %bb.795:                              ;   in Loop: Header=BB0_601 Depth=2
	v_cmp_ne_u32_e64 s[18:19], s50, v0
	v_bfrev_b32_e32 v3, 1
	s_and_saveexec_b64 s[78:79], s[18:19]
	s_cbranch_execz .LBB0_801
; %bb.796:                              ;   in Loop: Header=BB0_601 Depth=2
	v_and_b32_e32 v3, 0x7c000000, v58
	v_bfe_u32 v4, v58, 24, 2
	v_cmp_ne_u32_e64 s[18:19], s54, v3
                                        ; implicit-def: $vgpr3
	s_and_saveexec_b64 s[88:89], s[18:19]
	s_xor_b64 s[88:89], exec, s[88:89]
	s_cbranch_execz .LBB0_798
; %bb.797:                              ;   in Loop: Header=BB0_601 Depth=2
	v_ffbh_u32_e32 v17, v4
	v_min_u32_e32 v27, 32, v17
	v_subrev_u32_e32 v17, 29, v27
	v_lshlrev_b64 v[17:18], v17, v[0:1]
	v_bfe_u32 v3, v58, 26, 5
	v_sub_u32_e32 v0, 30, v27
	v_and_b32_e32 v17, 3, v17
	v_cmp_eq_u32_e64 s[18:19], 0, v3
	v_cndmask_b32_e64 v0, v3, v0, s[18:19]
	v_cndmask_b32_e64 v3, v4, v17, s[18:19]
	v_and_b32_e32 v4, 0x80000000, v58
	v_lshl_add_u32 v0, v0, 23, v4
	v_lshl_or_b32 v0, v3, 21, v0
	v_add_u32_e32 v3, 0x38000000, v0
                                        ; implicit-def: $vgpr4
.LBB0_798:                              ;   in Loop: Header=BB0_601 Depth=2
	s_andn2_saveexec_b64 s[88:89], s[88:89]
; %bb.799:                              ;   in Loop: Header=BB0_601 Depth=2
	v_cmp_lt_i32_e64 s[18:19], -1, v58
	v_cndmask_b32_e64 v0, v8, v54, s[18:19]
	v_cmp_eq_u32_e64 s[18:19], 0, v4
	v_cndmask_b32_e64 v3, v55, v0, s[18:19]
; %bb.800:                              ;   in Loop: Header=BB0_601 Depth=2
	s_or_b64 exec, exec, s[88:89]
.LBB0_801:                              ;   in Loop: Header=BB0_601 Depth=2
	s_or_b64 exec, exec, s[78:79]
.LBB0_802:                              ;   in Loop: Header=BB0_601 Depth=2
	s_or_b64 exec, exec, s[76:77]
	v_max_f32_e32 v0, v3, v3
	v_max_f32_e32 v2, v2, v2
	;; [unrolled: 1-line block ×3, first 2 shown]
                                        ; implicit-def: $vgpr0
                                        ; implicit-def: $vgpr18
.LBB0_803:                              ;   in Loop: Header=BB0_601 Depth=2
	s_andn2_saveexec_b64 s[18:19], s[74:75]
	s_cbranch_execz .LBB0_821
; %bb.804:                              ;   in Loop: Header=BB0_601 Depth=2
	v_mov_b32_e32 v3, 0
	v_mov_b32_e32 v2, 0
	s_and_saveexec_b64 s[74:75], vcc
	s_cbranch_execz .LBB0_812
; %bb.805:                              ;   in Loop: Header=BB0_601 Depth=2
	v_cmp_ne_u32_e32 vcc, s50, v18
	v_bfrev_b32_e32 v2, 1
	s_and_saveexec_b64 s[76:77], vcc
	s_cbranch_execz .LBB0_811
; %bb.806:                              ;   in Loop: Header=BB0_601 Depth=2
	v_and_b32_e32 v2, 0x7c000000, v17
	v_bfe_u32 v4, v17, 24, 2
	v_cmp_ne_u32_e32 vcc, s54, v2
                                        ; implicit-def: $vgpr2
	s_and_saveexec_b64 s[78:79], vcc
	s_xor_b64 s[78:79], exec, s[78:79]
	s_cbranch_execz .LBB0_808
; %bb.807:                              ;   in Loop: Header=BB0_601 Depth=2
	v_ffbh_u32_e32 v27, v4
	v_min_u32_e32 v36, 32, v27
	v_subrev_u32_e32 v27, 29, v36
	v_bfe_u32 v2, v17, 26, 5
	v_lshlrev_b64 v[27:28], v27, v[18:19]
	v_sub_u32_e32 v18, 30, v36
	v_cmp_eq_u32_e32 vcc, 0, v2
	v_and_b32_e32 v27, 3, v27
	v_cndmask_b32_e32 v2, v2, v18, vcc
	v_and_b32_e32 v17, 0x80000000, v17
	v_cndmask_b32_e32 v4, v4, v27, vcc
	v_lshl_add_u32 v2, v2, 23, v17
	v_lshl_or_b32 v2, v4, 21, v2
	v_add_u32_e32 v2, 0x38000000, v2
                                        ; implicit-def: $vgpr4
.LBB0_808:                              ;   in Loop: Header=BB0_601 Depth=2
	s_andn2_saveexec_b64 s[78:79], s[78:79]
; %bb.809:                              ;   in Loop: Header=BB0_601 Depth=2
	v_cmp_lt_i32_e32 vcc, -1, v17
	v_cndmask_b32_e32 v2, v8, v54, vcc
	v_cmp_eq_u32_e32 vcc, 0, v4
	v_cndmask_b32_e32 v2, v55, v2, vcc
; %bb.810:                              ;   in Loop: Header=BB0_601 Depth=2
	s_or_b64 exec, exec, s[78:79]
.LBB0_811:                              ;   in Loop: Header=BB0_601 Depth=2
	s_or_b64 exec, exec, s[76:77]
.LBB0_812:                              ;   in Loop: Header=BB0_601 Depth=2
	s_or_b64 exec, exec, s[74:75]
	v_cmp_lt_u32_e32 vcc, s57, v58
	s_and_saveexec_b64 s[74:75], vcc
	s_cbranch_execz .LBB0_820
; %bb.813:                              ;   in Loop: Header=BB0_601 Depth=2
	v_cmp_ne_u32_e32 vcc, s50, v0
	v_bfrev_b32_e32 v3, 1
	s_and_saveexec_b64 s[76:77], vcc
	s_cbranch_execz .LBB0_819
; %bb.814:                              ;   in Loop: Header=BB0_601 Depth=2
	v_and_b32_e32 v3, 0x7c000000, v58
	v_bfe_u32 v4, v58, 24, 2
	v_cmp_ne_u32_e32 vcc, s54, v3
                                        ; implicit-def: $vgpr3
	s_and_saveexec_b64 s[78:79], vcc
	s_xor_b64 s[78:79], exec, s[78:79]
	s_cbranch_execz .LBB0_816
; %bb.815:                              ;   in Loop: Header=BB0_601 Depth=2
	v_ffbh_u32_e32 v17, v4
	v_min_u32_e32 v27, 32, v17
	v_subrev_u32_e32 v17, 29, v27
	v_lshlrev_b64 v[17:18], v17, v[0:1]
	v_bfe_u32 v3, v58, 26, 5
	v_sub_u32_e32 v0, 30, v27
	v_and_b32_e32 v17, 3, v17
	v_cmp_eq_u32_e32 vcc, 0, v3
	v_cndmask_b32_e32 v0, v3, v0, vcc
	v_cndmask_b32_e32 v3, v4, v17, vcc
	v_and_b32_e32 v4, 0x80000000, v58
	v_lshl_add_u32 v0, v0, 23, v4
	v_lshl_or_b32 v0, v3, 21, v0
	v_add_u32_e32 v3, 0x38000000, v0
                                        ; implicit-def: $vgpr4
.LBB0_816:                              ;   in Loop: Header=BB0_601 Depth=2
	s_andn2_saveexec_b64 s[78:79], s[78:79]
; %bb.817:                              ;   in Loop: Header=BB0_601 Depth=2
	v_cmp_lt_i32_e32 vcc, -1, v58
	v_cndmask_b32_e32 v0, v8, v54, vcc
	v_cmp_eq_u32_e32 vcc, 0, v4
	v_cndmask_b32_e32 v3, v55, v0, vcc
; %bb.818:                              ;   in Loop: Header=BB0_601 Depth=2
	s_or_b64 exec, exec, s[78:79]
.LBB0_819:                              ;   in Loop: Header=BB0_601 Depth=2
	s_or_b64 exec, exec, s[76:77]
.LBB0_820:                              ;   in Loop: Header=BB0_601 Depth=2
	s_or_b64 exec, exec, s[74:75]
	v_max_f32_e32 v0, v3, v3
	v_max_f32_e32 v2, v2, v2
	v_min_f32_e32 v2, v2, v0
.LBB0_821:                              ;   in Loop: Header=BB0_601 Depth=2
	s_or_b64 exec, exec, s[18:19]
	v_and_b32_e32 v3, 0x7f800000, v2
	v_mov_b32_e32 v4, v59
	v_cmp_ne_u64_e32 vcc, s[58:59], v[3:4]
	v_and_b32_e32 v58, 0x7fffff, v2
                                        ; implicit-def: $vgpr36
	s_and_saveexec_b64 s[18:19], vcc
	s_xor_b64 s[74:75], exec, s[18:19]
	s_cbranch_execz .LBB0_835
; %bb.822:                              ;   in Loop: Header=BB0_601 Depth=2
	v_and_b32_e32 v3, 0x7fffffff, v2
	v_mov_b32_e32 v4, v59
	v_cmp_gt_u64_e32 vcc, s[60:61], v[3:4]
	v_and_b32_sdwa v0, v2, s50 dst_sel:DWORD dst_unused:UNUSED_PAD src0_sel:BYTE_3 src1_sel:DWORD
                                        ; implicit-def: $vgpr36
	s_and_saveexec_b64 s[18:19], vcc
	s_xor_b64 s[76:77], exec, s[18:19]
	s_cbranch_execz .LBB0_832
; %bb.823:                              ;   in Loop: Header=BB0_601 Depth=2
	v_mov_b32_e32 v36, 0
	v_cmp_ne_u32_e32 vcc, 0, v2
	s_and_saveexec_b64 s[78:79], vcc
	s_cbranch_execz .LBB0_831
; %bb.824:                              ;   in Loop: Header=BB0_601 Depth=2
	v_bfe_u32 v17, v2, 23, 8
	v_cmp_gt_u32_e64 s[18:19], s51, v17
	v_sub_u32_e32 v2, 0x71, v17
	v_cmp_eq_u32_e32 vcc, 0, v17
	v_cndmask_b32_e64 v2, 0, v2, s[18:19]
	v_cndmask_b32_e32 v18, v2, v25, vcc
	v_or_b32_e32 v3, 0x800000, v58
	v_add_u32_e32 v2, 21, v18
	v_cndmask_b32_e32 v58, v3, v58, vcc
	v_lshlrev_b64 v[2:3], v2, -1
	v_add_u32_e32 v4, 20, v18
	v_lshlrev_b64 v[27:28], v4, 1
	v_bfi_b32 v3, v3, 0, 0
	v_bfi_b32 v2, v2, 0, v58
	v_cmp_eq_u64_e64 s[18:19], v[2:3], v[27:28]
	v_lshrrev_b64 v[2:3], v18, v[58:59]
	v_mov_b32_e32 v4, v3
	v_mov_b32_e32 v3, v2
	s_and_saveexec_b64 s[88:89], s[18:19]
; %bb.825:                              ;   in Loop: Header=BB0_601 Depth=2
	v_bfe_u32 v3, v2, 21, 1
	v_add_co_u32_e64 v3, s[18:19], v2, v3
	v_add_co_u32_e64 v3, s[18:19], -1, v3
; %bb.826:                              ;   in Loop: Header=BB0_601 Depth=2
	s_or_b64 exec, exec, s[88:89]
	v_add_u32_e32 v4, 0xffffff81, v17
	v_cndmask_b32_e32 v4, v4, v48, vcc
	v_lshrrev_b32_e32 v17, 23, v2
	v_add3_u32 v18, v18, v4, v17
	v_add_u32_e32 v17, 14, v18
	v_and_b32_e32 v3, 0x1fffff, v3
	v_add_u32_e32 v58, v3, v2
	v_cmp_ne_u32_e32 vcc, 0, v17
                                        ; implicit-def: $vgpr2_vgpr3
                                        ; implicit-def: $vgpr4
	s_and_saveexec_b64 s[18:19], vcc
	s_xor_b64 s[18:19], exec, s[18:19]
; %bb.827:                              ;   in Loop: Header=BB0_601 Depth=2
	v_cmp_lt_u64_e32 vcc, s[62:63], v[58:59]
	v_add_u32_e32 v2, 15, v18
	v_cndmask_b32_e32 v4, v17, v2, vcc
	v_cndmask_b32_e64 v2, 0, 1, vcc
	v_lshrrev_b64 v[2:3], v2, v[58:59]
; %bb.828:                              ;   in Loop: Header=BB0_601 Depth=2
	s_andn2_saveexec_b64 s[18:19], s[18:19]
; %bb.829:                              ;   in Loop: Header=BB0_601 Depth=2
	v_mov_b32_e32 v2, v58
	v_bfe_u32 v4, v58, 23, 1
	v_mov_b32_e32 v3, v59
; %bb.830:                              ;   in Loop: Header=BB0_601 Depth=2
	s_or_b64 exec, exec, s[18:19]
	v_lshrrev_b64 v[2:3], 21, v[2:3]
	v_cmp_gt_i32_e32 vcc, 32, v4
	v_cndmask_b32_e32 v3, 0, v3, vcc
	v_cndmask_b32_e32 v2, 3, v2, vcc
	v_cmp_eq_u64_e64 s[18:19], 0, v[2:3]
	v_min_i32_e32 v3, 31, v4
	v_lshlrev_b32_e32 v3, 2, v3
	v_cmp_eq_u32_e32 vcc, 0, v4
	v_and_b32_e32 v3, 0xfc, v3
	v_and_or_b32 v2, v2, 3, v3
	s_and_b64 s[18:19], vcc, s[18:19]
	v_cndmask_b32_e64 v2, v2, 0, s[18:19]
	v_or_b32_e32 v36, v2, v0
.LBB0_831:                              ;   in Loop: Header=BB0_601 Depth=2
	s_or_b64 exec, exec, s[78:79]
                                        ; implicit-def: $vgpr0
.LBB0_832:                              ;   in Loop: Header=BB0_601 Depth=2
	s_andn2_saveexec_b64 s[18:19], s[76:77]
; %bb.833:                              ;   in Loop: Header=BB0_601 Depth=2
	v_or_b32_e32 v36, 0x7b, v0
; %bb.834:                              ;   in Loop: Header=BB0_601 Depth=2
	s_or_b64 exec, exec, s[18:19]
                                        ; implicit-def: $vgpr2
.LBB0_835:                              ;   in Loop: Header=BB0_601 Depth=2
	s_andn2_saveexec_b64 s[18:19], s[74:75]
	s_cbranch_execz .LBB0_841
; %bb.836:                              ;   in Loop: Header=BB0_601 Depth=2
	v_cmp_ne_u64_e32 vcc, 0, v[58:59]
                                        ; implicit-def: $vgpr36
	s_and_saveexec_b64 s[74:75], vcc
	s_xor_b64 s[74:75], exec, s[74:75]
; %bb.837:                              ;   in Loop: Header=BB0_601 Depth=2
	v_or_b32_sdwa v36, v2, s52 dst_sel:DWORD dst_unused:UNUSED_PAD src0_sel:BYTE_3 src1_sel:DWORD
                                        ; implicit-def: $vgpr2
; %bb.838:                              ;   in Loop: Header=BB0_601 Depth=2
	s_andn2_saveexec_b64 s[74:75], s[74:75]
; %bb.839:                              ;   in Loop: Header=BB0_601 Depth=2
	v_cmp_lt_i32_e32 vcc, -1, v2
	v_cndmask_b32_e32 v36, v49, v31, vcc
; %bb.840:                              ;   in Loop: Header=BB0_601 Depth=2
	s_or_b64 exec, exec, s[74:75]
.LBB0_841:                              ;   in Loop: Header=BB0_601 Depth=2
	s_or_b64 exec, exec, s[18:19]
	v_alignbit_b32 v58, v24, v33, v37
	v_cmp_ne_u16_sdwa s[18:19], v19, v59 src0_sel:BYTE_0 src1_sel:DWORD
                                        ; implicit-def: $vgpr4
	s_and_saveexec_b64 s[74:75], s[14:15]
	s_xor_b64 s[74:75], exec, s[74:75]
	s_cbranch_execz .LBB0_859
; %bb.842:                              ;   in Loop: Header=BB0_601 Depth=2
	v_mov_b32_e32 v2, 0
	v_mov_b32_e32 v0, 0
	s_and_saveexec_b64 s[76:77], s[18:19]
	s_cbranch_execz .LBB0_850
; %bb.843:                              ;   in Loop: Header=BB0_601 Depth=2
	v_cmp_ne_u16_sdwa s[88:89], sext(v19), s48 src0_sel:BYTE_0 src1_sel:DWORD
	v_bfrev_b32_e32 v0, 1
	s_and_saveexec_b64 s[78:79], s[88:89]
	s_cbranch_execz .LBB0_849
; %bb.844:                              ;   in Loop: Header=BB0_601 Depth=2
	v_and_b32_e32 v0, 0x7c, v19
	v_and_b32_e32 v3, 3, v19
	v_cmp_ne_u32_e32 vcc, s49, v0
                                        ; implicit-def: $vgpr0
	s_and_saveexec_b64 s[88:89], vcc
	s_xor_b64 s[88:89], exec, s[88:89]
	s_cbranch_execz .LBB0_846
; %bb.845:                              ;   in Loop: Header=BB0_601 Depth=2
	v_ffbh_u32_e32 v4, v3
	v_min_u32_e32 v4, 32, v4
	v_bfe_u32 v0, v19, 2, 5
	v_subrev_u32_e32 v17, 29, v4
	v_lshlrev_b64 v[17:18], v17, v[19:20]
	v_sub_u32_e32 v4, 30, v4
	v_cmp_eq_u32_e32 vcc, 0, v0
	v_cndmask_b32_e32 v0, v0, v4, vcc
	v_lshlrev_b32_e32 v4, 24, v19
	v_and_b32_e32 v17, 3, v17
	v_and_b32_e32 v4, 0x80000000, v4
	v_cndmask_b32_e32 v3, v3, v17, vcc
	v_lshl_add_u32 v0, v0, 23, v4
	v_lshl_or_b32 v0, v3, 21, v0
	v_add_u32_e32 v0, 0x38000000, v0
                                        ; implicit-def: $vgpr3
.LBB0_846:                              ;   in Loop: Header=BB0_601 Depth=2
	s_andn2_saveexec_b64 s[88:89], s[88:89]
; %bb.847:                              ;   in Loop: Header=BB0_601 Depth=2
	v_cmp_gt_i16_sdwa vcc, sext(v19), v43 src0_sel:BYTE_0 src1_sel:DWORD
	v_cndmask_b32_e32 v0, v8, v54, vcc
	v_cmp_eq_u32_e32 vcc, 0, v3
	v_cndmask_b32_e32 v0, v55, v0, vcc
; %bb.848:                              ;   in Loop: Header=BB0_601 Depth=2
	s_or_b64 exec, exec, s[88:89]
.LBB0_849:                              ;   in Loop: Header=BB0_601 Depth=2
	s_or_b64 exec, exec, s[78:79]
.LBB0_850:                              ;   in Loop: Header=BB0_601 Depth=2
	s_or_b64 exec, exec, s[76:77]
	v_cmp_ne_u16_sdwa s[78:79], sext(v58), v59 src0_sel:BYTE_0 src1_sel:DWORD
	s_and_saveexec_b64 s[76:77], s[78:79]
	s_cbranch_execz .LBB0_858
; %bb.851:                              ;   in Loop: Header=BB0_601 Depth=2
	v_cmp_ne_u16_sdwa s[88:89], sext(v58), s48 src0_sel:BYTE_0 src1_sel:DWORD
	v_bfrev_b32_e32 v2, 1
	s_and_saveexec_b64 s[78:79], s[88:89]
	s_cbranch_execz .LBB0_857
; %bb.852:                              ;   in Loop: Header=BB0_601 Depth=2
	v_and_b32_e32 v2, 0x7c, v58
	v_and_b32_e32 v3, 3, v58
	v_cmp_ne_u32_e32 vcc, s49, v2
                                        ; implicit-def: $vgpr2
	s_and_saveexec_b64 s[88:89], vcc
	s_xor_b64 s[88:89], exec, s[88:89]
	s_cbranch_execz .LBB0_854
; %bb.853:                              ;   in Loop: Header=BB0_601 Depth=2
	v_ffbh_u32_e32 v4, v3
	v_min_u32_e32 v4, 32, v4
	v_bfe_u32 v2, v58, 2, 5
	v_subrev_u32_e32 v17, 29, v4
	v_lshlrev_b64 v[17:18], v17, v[58:59]
	v_sub_u32_e32 v4, 30, v4
	v_cmp_eq_u32_e32 vcc, 0, v2
	v_cndmask_b32_e32 v2, v2, v4, vcc
	v_lshlrev_b32_e32 v4, 24, v58
	v_and_b32_e32 v17, 3, v17
	v_and_b32_e32 v4, 0x80000000, v4
	v_cndmask_b32_e32 v3, v3, v17, vcc
	v_lshl_add_u32 v2, v2, 23, v4
	v_lshl_or_b32 v2, v3, 21, v2
	v_add_u32_e32 v2, 0x38000000, v2
                                        ; implicit-def: $vgpr3
.LBB0_854:                              ;   in Loop: Header=BB0_601 Depth=2
	s_andn2_saveexec_b64 s[88:89], s[88:89]
; %bb.855:                              ;   in Loop: Header=BB0_601 Depth=2
	v_cmp_gt_i16_sdwa vcc, sext(v58), v43 src0_sel:BYTE_0 src1_sel:DWORD
	v_cndmask_b32_e32 v2, v8, v54, vcc
	v_cmp_eq_u32_e32 vcc, 0, v3
	v_cndmask_b32_e32 v2, v55, v2, vcc
; %bb.856:                              ;   in Loop: Header=BB0_601 Depth=2
	s_or_b64 exec, exec, s[88:89]
.LBB0_857:                              ;   in Loop: Header=BB0_601 Depth=2
	s_or_b64 exec, exec, s[78:79]
.LBB0_858:                              ;   in Loop: Header=BB0_601 Depth=2
	s_or_b64 exec, exec, s[76:77]
	v_max_f32_e32 v2, v2, v2
	v_max_f32_e32 v0, v0, v0
	v_max_f32_e32 v4, v0, v2
.LBB0_859:                              ;   in Loop: Header=BB0_601 Depth=2
	s_andn2_saveexec_b64 s[74:75], s[74:75]
	s_cbranch_execz .LBB0_877
; %bb.860:                              ;   in Loop: Header=BB0_601 Depth=2
	v_mov_b32_e32 v2, 0
	v_mov_b32_e32 v0, 0
	s_and_saveexec_b64 s[76:77], s[18:19]
	s_cbranch_execz .LBB0_868
; %bb.861:                              ;   in Loop: Header=BB0_601 Depth=2
	v_cmp_ne_u16_sdwa s[78:79], sext(v19), s48 src0_sel:BYTE_0 src1_sel:DWORD
	v_bfrev_b32_e32 v0, 1
	s_and_saveexec_b64 s[18:19], s[78:79]
	s_cbranch_execz .LBB0_867
; %bb.862:                              ;   in Loop: Header=BB0_601 Depth=2
	v_and_b32_e32 v0, 0x7c, v19
	v_and_b32_e32 v3, 3, v19
	v_cmp_ne_u32_e32 vcc, s49, v0
                                        ; implicit-def: $vgpr0
	s_and_saveexec_b64 s[78:79], vcc
	s_xor_b64 s[78:79], exec, s[78:79]
	s_cbranch_execz .LBB0_864
; %bb.863:                              ;   in Loop: Header=BB0_601 Depth=2
	v_ffbh_u32_e32 v4, v3
	v_min_u32_e32 v4, 32, v4
	v_bfe_u32 v0, v19, 2, 5
	v_subrev_u32_e32 v17, 29, v4
	v_lshlrev_b64 v[17:18], v17, v[19:20]
	v_sub_u32_e32 v4, 30, v4
	v_cmp_eq_u32_e32 vcc, 0, v0
	v_cndmask_b32_e32 v0, v0, v4, vcc
	v_lshlrev_b32_e32 v4, 24, v19
	v_and_b32_e32 v17, 3, v17
	v_and_b32_e32 v4, 0x80000000, v4
	v_cndmask_b32_e32 v3, v3, v17, vcc
	v_lshl_add_u32 v0, v0, 23, v4
	v_lshl_or_b32 v0, v3, 21, v0
	v_add_u32_e32 v0, 0x38000000, v0
                                        ; implicit-def: $vgpr3
.LBB0_864:                              ;   in Loop: Header=BB0_601 Depth=2
	s_andn2_saveexec_b64 s[78:79], s[78:79]
; %bb.865:                              ;   in Loop: Header=BB0_601 Depth=2
	v_cmp_gt_i16_sdwa vcc, sext(v19), v43 src0_sel:BYTE_0 src1_sel:DWORD
	v_cndmask_b32_e32 v0, v8, v54, vcc
	v_cmp_eq_u32_e32 vcc, 0, v3
	v_cndmask_b32_e32 v0, v55, v0, vcc
; %bb.866:                              ;   in Loop: Header=BB0_601 Depth=2
	s_or_b64 exec, exec, s[78:79]
.LBB0_867:                              ;   in Loop: Header=BB0_601 Depth=2
	s_or_b64 exec, exec, s[18:19]
.LBB0_868:                              ;   in Loop: Header=BB0_601 Depth=2
	s_or_b64 exec, exec, s[76:77]
	v_cmp_ne_u16_sdwa s[76:77], sext(v58), v59 src0_sel:BYTE_0 src1_sel:DWORD
	s_and_saveexec_b64 s[18:19], s[76:77]
	s_cbranch_execz .LBB0_876
; %bb.869:                              ;   in Loop: Header=BB0_601 Depth=2
	v_cmp_ne_u16_sdwa s[78:79], sext(v58), s48 src0_sel:BYTE_0 src1_sel:DWORD
	v_bfrev_b32_e32 v2, 1
	s_and_saveexec_b64 s[76:77], s[78:79]
	s_cbranch_execz .LBB0_875
; %bb.870:                              ;   in Loop: Header=BB0_601 Depth=2
	v_and_b32_e32 v2, 0x7c, v58
	v_and_b32_e32 v3, 3, v58
	v_cmp_ne_u32_e32 vcc, s49, v2
                                        ; implicit-def: $vgpr2
	s_and_saveexec_b64 s[78:79], vcc
	s_xor_b64 s[78:79], exec, s[78:79]
	s_cbranch_execz .LBB0_872
; %bb.871:                              ;   in Loop: Header=BB0_601 Depth=2
	v_ffbh_u32_e32 v4, v3
	v_min_u32_e32 v4, 32, v4
	v_bfe_u32 v2, v58, 2, 5
	v_subrev_u32_e32 v17, 29, v4
	v_lshlrev_b64 v[17:18], v17, v[58:59]
	v_sub_u32_e32 v4, 30, v4
	v_cmp_eq_u32_e32 vcc, 0, v2
	v_cndmask_b32_e32 v2, v2, v4, vcc
	v_lshlrev_b32_e32 v4, 24, v58
	v_and_b32_e32 v17, 3, v17
	v_and_b32_e32 v4, 0x80000000, v4
	v_cndmask_b32_e32 v3, v3, v17, vcc
	v_lshl_add_u32 v2, v2, 23, v4
	v_lshl_or_b32 v2, v3, 21, v2
	v_add_u32_e32 v2, 0x38000000, v2
                                        ; implicit-def: $vgpr3
.LBB0_872:                              ;   in Loop: Header=BB0_601 Depth=2
	s_andn2_saveexec_b64 s[78:79], s[78:79]
; %bb.873:                              ;   in Loop: Header=BB0_601 Depth=2
	v_cmp_gt_i16_sdwa vcc, sext(v58), v43 src0_sel:BYTE_0 src1_sel:DWORD
	v_cndmask_b32_e32 v2, v8, v54, vcc
	v_cmp_eq_u32_e32 vcc, 0, v3
	v_cndmask_b32_e32 v2, v55, v2, vcc
; %bb.874:                              ;   in Loop: Header=BB0_601 Depth=2
	s_or_b64 exec, exec, s[78:79]
.LBB0_875:                              ;   in Loop: Header=BB0_601 Depth=2
	s_or_b64 exec, exec, s[76:77]
.LBB0_876:                              ;   in Loop: Header=BB0_601 Depth=2
	s_or_b64 exec, exec, s[18:19]
	v_max_f32_e32 v2, v2, v2
	v_max_f32_e32 v0, v0, v0
	v_min_f32_e32 v4, v0, v2
.LBB0_877:                              ;   in Loop: Header=BB0_601 Depth=2
	s_or_b64 exec, exec, s[74:75]
	v_and_b32_e32 v17, 0x7f800000, v4
	v_mov_b32_e32 v18, v59
	v_cmp_ne_u64_e32 vcc, s[58:59], v[17:18]
	v_and_b32_e32 v2, 0x7fffff, v4
	v_mov_b32_e32 v3, v59
                                        ; implicit-def: $vgpr20
	s_and_saveexec_b64 s[18:19], vcc
	s_xor_b64 s[74:75], exec, s[18:19]
	s_cbranch_execz .LBB0_891
; %bb.878:                              ;   in Loop: Header=BB0_601 Depth=2
	v_and_b32_e32 v17, 0x7fffffff, v4
	v_mov_b32_e32 v18, v59
	v_cmp_gt_u64_e32 vcc, s[60:61], v[17:18]
	v_and_b32_sdwa v0, v4, s50 dst_sel:DWORD dst_unused:UNUSED_PAD src0_sel:BYTE_3 src1_sel:DWORD
                                        ; implicit-def: $vgpr20
	s_and_saveexec_b64 s[18:19], vcc
	s_xor_b64 s[76:77], exec, s[18:19]
	s_cbranch_execz .LBB0_888
; %bb.879:                              ;   in Loop: Header=BB0_601 Depth=2
	v_mov_b32_e32 v20, 0
	v_cmp_ne_u32_e32 vcc, 0, v4
	s_and_saveexec_b64 s[78:79], vcc
	s_cbranch_execz .LBB0_887
; %bb.880:                              ;   in Loop: Header=BB0_601 Depth=2
	v_bfe_u32 v17, v4, 23, 8
	v_cmp_gt_u32_e64 s[18:19], s51, v17
	v_sub_u32_e32 v4, 0x71, v17
	v_cmp_eq_u32_e32 vcc, 0, v17
	v_cndmask_b32_e64 v4, 0, v4, s[18:19]
	v_cndmask_b32_e32 v18, v4, v25, vcc
	v_add_u32_e32 v4, 21, v18
	v_or_b32_e32 v20, 0x800000, v2
	v_lshlrev_b64 v[27:28], v4, -1
	v_cndmask_b32_e32 v2, v20, v2, vcc
	v_add_u32_e32 v4, 20, v18
	v_bfi_b32 v27, v27, 0, v2
	v_lshlrev_b64 v[37:38], v4, 1
	v_lshrrev_b64 v[2:3], v18, v[2:3]
	v_bfi_b32 v28, v28, 0, 0
	v_cmp_eq_u64_e64 s[18:19], v[27:28], v[37:38]
	v_mov_b32_e32 v4, v3
	v_mov_b32_e32 v3, v2
	s_and_saveexec_b64 s[88:89], s[18:19]
; %bb.881:                              ;   in Loop: Header=BB0_601 Depth=2
	v_bfe_u32 v3, v2, 21, 1
	v_add_co_u32_e64 v3, s[18:19], v2, v3
	v_add_co_u32_e64 v3, s[18:19], -1, v3
; %bb.882:                              ;   in Loop: Header=BB0_601 Depth=2
	s_or_b64 exec, exec, s[88:89]
	v_add_u32_e32 v4, 0xffffff81, v17
	v_cndmask_b32_e32 v4, v4, v48, vcc
	v_lshrrev_b32_e32 v17, 23, v2
	v_add3_u32 v18, v18, v4, v17
	v_add_u32_e32 v17, 14, v18
	v_and_b32_e32 v3, 0x1fffff, v3
	v_add_u32_e32 v2, v3, v2
	v_mov_b32_e32 v3, v59
	v_cmp_ne_u32_e32 vcc, 0, v17
                                        ; implicit-def: $vgpr4
	s_and_saveexec_b64 s[18:19], vcc
	s_xor_b64 s[18:19], exec, s[18:19]
; %bb.883:                              ;   in Loop: Header=BB0_601 Depth=2
	v_cmp_lt_u64_e32 vcc, s[62:63], v[2:3]
	v_add_u32_e32 v4, 15, v18
	v_cndmask_b32_e32 v4, v17, v4, vcc
	v_cndmask_b32_e64 v17, 0, 1, vcc
	v_lshrrev_b64 v[2:3], v17, v[2:3]
; %bb.884:                              ;   in Loop: Header=BB0_601 Depth=2
	s_andn2_saveexec_b64 s[18:19], s[18:19]
; %bb.885:                              ;   in Loop: Header=BB0_601 Depth=2
	v_bfe_u32 v4, v2, 23, 1
; %bb.886:                              ;   in Loop: Header=BB0_601 Depth=2
	s_or_b64 exec, exec, s[18:19]
	v_lshrrev_b64 v[2:3], 21, v[2:3]
	v_cmp_gt_i32_e32 vcc, 32, v4
	v_cndmask_b32_e32 v3, 0, v3, vcc
	v_cndmask_b32_e32 v2, 3, v2, vcc
	v_cmp_eq_u64_e64 s[18:19], 0, v[2:3]
	v_min_i32_e32 v3, 31, v4
	v_lshlrev_b32_e32 v3, 2, v3
	v_cmp_eq_u32_e32 vcc, 0, v4
	v_and_b32_e32 v3, 0xfc, v3
	v_and_or_b32 v2, v2, 3, v3
	s_and_b64 s[18:19], vcc, s[18:19]
	v_cndmask_b32_e64 v2, v2, 0, s[18:19]
	v_or_b32_e32 v20, v2, v0
.LBB0_887:                              ;   in Loop: Header=BB0_601 Depth=2
	s_or_b64 exec, exec, s[78:79]
                                        ; implicit-def: $vgpr0
.LBB0_888:                              ;   in Loop: Header=BB0_601 Depth=2
	s_andn2_saveexec_b64 s[18:19], s[76:77]
; %bb.889:                              ;   in Loop: Header=BB0_601 Depth=2
	v_or_b32_e32 v20, 0x7b, v0
; %bb.890:                              ;   in Loop: Header=BB0_601 Depth=2
	s_or_b64 exec, exec, s[18:19]
                                        ; implicit-def: $vgpr4
                                        ; implicit-def: $vgpr2_vgpr3
.LBB0_891:                              ;   in Loop: Header=BB0_601 Depth=2
	s_andn2_saveexec_b64 s[18:19], s[74:75]
	s_cbranch_execz .LBB0_897
; %bb.892:                              ;   in Loop: Header=BB0_601 Depth=2
	v_cmp_ne_u64_e32 vcc, 0, v[2:3]
                                        ; implicit-def: $vgpr20
	s_and_saveexec_b64 s[74:75], vcc
	s_xor_b64 s[74:75], exec, s[74:75]
; %bb.893:                              ;   in Loop: Header=BB0_601 Depth=2
	v_or_b32_sdwa v20, v4, s52 dst_sel:DWORD dst_unused:UNUSED_PAD src0_sel:BYTE_3 src1_sel:DWORD
                                        ; implicit-def: $vgpr4
; %bb.894:                              ;   in Loop: Header=BB0_601 Depth=2
	s_andn2_saveexec_b64 s[74:75], s[74:75]
; %bb.895:                              ;   in Loop: Header=BB0_601 Depth=2
	v_cmp_lt_i32_e32 vcc, -1, v4
	v_cndmask_b32_e32 v20, v49, v31, vcc
; %bb.896:                              ;   in Loop: Header=BB0_601 Depth=2
	s_or_b64 exec, exec, s[74:75]
.LBB0_897:                              ;   in Loop: Header=BB0_601 Depth=2
	s_or_b64 exec, exec, s[18:19]
	v_lshrrev_b16_e32 v2, 8, v19
	v_lshrrev_b16_e32 v17, 8, v58
	v_cmp_ne_u16_e32 vcc, 0, v2
                                        ; implicit-def: $vgpr4
	s_and_saveexec_b64 s[18:19], s[14:15]
	s_xor_b64 s[74:75], exec, s[18:19]
	s_cbranch_execz .LBB0_915
; %bb.898:                              ;   in Loop: Header=BB0_601 Depth=2
	v_mov_b32_e32 v4, 0
	v_mov_b32_e32 v0, 0
	s_and_saveexec_b64 s[76:77], vcc
	s_cbranch_execz .LBB0_906
; %bb.899:                              ;   in Loop: Header=BB0_601 Depth=2
	v_cmp_ne_u16_e64 s[18:19], s50, v2
	v_bfrev_b32_e32 v0, 1
	s_and_saveexec_b64 s[78:79], s[18:19]
	s_cbranch_execz .LBB0_905
; %bb.900:                              ;   in Loop: Header=BB0_601 Depth=2
	v_and_b32_e32 v0, 0x7c, v2
	v_and_b32_e32 v18, 3, v2
	v_cmp_ne_u32_e64 s[18:19], s49, v0
                                        ; implicit-def: $vgpr0
	s_and_saveexec_b64 s[88:89], s[18:19]
	s_xor_b64 s[88:89], exec, s[88:89]
	s_cbranch_execz .LBB0_902
; %bb.901:                              ;   in Loop: Header=BB0_601 Depth=2
	v_ffbh_u32_e32 v24, v18
	v_min_u32_e32 v24, 32, v24
	v_mov_b32_e32 v3, v59
	v_subrev_u32_e32 v27, 29, v24
	v_bfe_u32 v0, v2, 2, 5
	v_lshlrev_b64 v[2:3], v27, v[2:3]
	v_sub_u32_e32 v3, 30, v24
	v_cmp_eq_u32_e64 s[18:19], 0, v0
	v_cndmask_b32_e64 v0, v0, v3, s[18:19]
	v_lshlrev_b32_e32 v3, 16, v19
	v_and_b32_e32 v2, 3, v2
	v_and_b32_e32 v3, 0x80000000, v3
	v_cndmask_b32_e64 v2, v18, v2, s[18:19]
	v_lshl_add_u32 v0, v0, 23, v3
	v_lshl_or_b32 v0, v2, 21, v0
	v_add_u32_e32 v0, 0x38000000, v0
                                        ; implicit-def: $vgpr18
.LBB0_902:                              ;   in Loop: Header=BB0_601 Depth=2
	s_andn2_saveexec_b64 s[88:89], s[88:89]
; %bb.903:                              ;   in Loop: Header=BB0_601 Depth=2
	v_cmp_lt_i16_e64 s[18:19], -1, v19
	v_cndmask_b32_e64 v0, v8, v54, s[18:19]
	v_cmp_eq_u32_e64 s[18:19], 0, v18
	v_cndmask_b32_e64 v0, v55, v0, s[18:19]
; %bb.904:                              ;   in Loop: Header=BB0_601 Depth=2
	s_or_b64 exec, exec, s[88:89]
.LBB0_905:                              ;   in Loop: Header=BB0_601 Depth=2
	s_or_b64 exec, exec, s[78:79]
.LBB0_906:                              ;   in Loop: Header=BB0_601 Depth=2
	s_or_b64 exec, exec, s[76:77]
	v_cmp_ne_u16_e64 s[18:19], 0, v17
	s_and_saveexec_b64 s[76:77], s[18:19]
	s_cbranch_execz .LBB0_914
; %bb.907:                              ;   in Loop: Header=BB0_601 Depth=2
	v_cmp_ne_u16_e64 s[18:19], s50, v17
	v_bfrev_b32_e32 v4, 1
	s_and_saveexec_b64 s[78:79], s[18:19]
	s_cbranch_execz .LBB0_913
; %bb.908:                              ;   in Loop: Header=BB0_601 Depth=2
	v_and_b32_e32 v3, 0x7c, v17
	v_and_b32_e32 v2, 3, v17
	v_cmp_ne_u32_e64 s[18:19], s49, v3
                                        ; implicit-def: $vgpr4
	s_and_saveexec_b64 s[88:89], s[18:19]
	s_xor_b64 s[88:89], exec, s[88:89]
	s_cbranch_execz .LBB0_910
; %bb.909:                              ;   in Loop: Header=BB0_601 Depth=2
	v_ffbh_u32_e32 v3, v2
	v_min_u32_e32 v27, 32, v3
	v_mov_b32_e32 v18, v59
	v_subrev_u32_e32 v3, 29, v27
	v_lshlrev_b64 v[3:4], v3, v[17:18]
	v_bfe_u32 v24, v17, 2, 5
	v_and_b32_e32 v3, 3, v3
	v_cmp_eq_u32_e64 s[18:19], 0, v24
	v_sub_u32_e32 v4, 30, v27
	v_cndmask_b32_e64 v2, v2, v3, s[18:19]
	v_lshlrev_b32_e32 v3, 16, v58
	v_cndmask_b32_e64 v4, v24, v4, s[18:19]
	v_and_b32_e32 v3, 0x80000000, v3
	v_lshl_add_u32 v3, v4, 23, v3
	v_lshl_or_b32 v2, v2, 21, v3
	v_add_u32_e32 v4, 0x38000000, v2
                                        ; implicit-def: $vgpr2
.LBB0_910:                              ;   in Loop: Header=BB0_601 Depth=2
	s_andn2_saveexec_b64 s[88:89], s[88:89]
; %bb.911:                              ;   in Loop: Header=BB0_601 Depth=2
	v_cmp_lt_i16_e64 s[18:19], -1, v58
	v_cndmask_b32_e64 v3, v8, v54, s[18:19]
	v_cmp_eq_u32_e64 s[18:19], 0, v2
	v_cndmask_b32_e64 v4, v55, v3, s[18:19]
; %bb.912:                              ;   in Loop: Header=BB0_601 Depth=2
	s_or_b64 exec, exec, s[88:89]
.LBB0_913:                              ;   in Loop: Header=BB0_601 Depth=2
	s_or_b64 exec, exec, s[78:79]
.LBB0_914:                              ;   in Loop: Header=BB0_601 Depth=2
	s_or_b64 exec, exec, s[76:77]
	v_max_f32_e32 v2, v4, v4
	v_max_f32_e32 v0, v0, v0
	;; [unrolled: 1-line block ×3, first 2 shown]
                                        ; implicit-def: $vgpr17
                                        ; implicit-def: $vgpr2
.LBB0_915:                              ;   in Loop: Header=BB0_601 Depth=2
	s_andn2_saveexec_b64 s[18:19], s[74:75]
	s_cbranch_execz .LBB0_933
; %bb.916:                              ;   in Loop: Header=BB0_601 Depth=2
	v_mov_b32_e32 v4, 0
	v_mov_b32_e32 v0, 0
	s_and_saveexec_b64 s[74:75], vcc
	s_cbranch_execz .LBB0_924
; %bb.917:                              ;   in Loop: Header=BB0_601 Depth=2
	v_cmp_ne_u16_e32 vcc, s50, v2
	v_bfrev_b32_e32 v0, 1
	s_and_saveexec_b64 s[76:77], vcc
	s_cbranch_execz .LBB0_923
; %bb.918:                              ;   in Loop: Header=BB0_601 Depth=2
	v_and_b32_e32 v0, 0x7c, v2
	v_and_b32_e32 v18, 3, v2
	v_cmp_ne_u32_e32 vcc, s49, v0
                                        ; implicit-def: $vgpr0
	s_and_saveexec_b64 s[78:79], vcc
	s_xor_b64 s[78:79], exec, s[78:79]
	s_cbranch_execz .LBB0_920
; %bb.919:                              ;   in Loop: Header=BB0_601 Depth=2
	v_ffbh_u32_e32 v24, v18
	v_min_u32_e32 v24, 32, v24
	v_mov_b32_e32 v3, v59
	v_subrev_u32_e32 v27, 29, v24
	v_bfe_u32 v0, v2, 2, 5
	v_lshlrev_b64 v[2:3], v27, v[2:3]
	v_sub_u32_e32 v3, 30, v24
	v_cmp_eq_u32_e32 vcc, 0, v0
	v_cndmask_b32_e32 v0, v0, v3, vcc
	v_lshlrev_b32_e32 v3, 16, v19
	v_and_b32_e32 v2, 3, v2
	v_and_b32_e32 v3, 0x80000000, v3
	v_cndmask_b32_e32 v2, v18, v2, vcc
	v_lshl_add_u32 v0, v0, 23, v3
	v_lshl_or_b32 v0, v2, 21, v0
	v_add_u32_e32 v0, 0x38000000, v0
                                        ; implicit-def: $vgpr18
.LBB0_920:                              ;   in Loop: Header=BB0_601 Depth=2
	s_andn2_saveexec_b64 s[78:79], s[78:79]
; %bb.921:                              ;   in Loop: Header=BB0_601 Depth=2
	v_cmp_lt_i16_e32 vcc, -1, v19
	v_cndmask_b32_e32 v0, v8, v54, vcc
	v_cmp_eq_u32_e32 vcc, 0, v18
	v_cndmask_b32_e32 v0, v55, v0, vcc
; %bb.922:                              ;   in Loop: Header=BB0_601 Depth=2
	s_or_b64 exec, exec, s[78:79]
.LBB0_923:                              ;   in Loop: Header=BB0_601 Depth=2
	s_or_b64 exec, exec, s[76:77]
.LBB0_924:                              ;   in Loop: Header=BB0_601 Depth=2
	s_or_b64 exec, exec, s[74:75]
	v_cmp_ne_u16_e32 vcc, 0, v17
	s_and_saveexec_b64 s[74:75], vcc
	s_cbranch_execz .LBB0_932
; %bb.925:                              ;   in Loop: Header=BB0_601 Depth=2
	v_cmp_ne_u16_e32 vcc, s50, v17
	v_bfrev_b32_e32 v4, 1
	s_and_saveexec_b64 s[76:77], vcc
	s_cbranch_execz .LBB0_931
; %bb.926:                              ;   in Loop: Header=BB0_601 Depth=2
	v_and_b32_e32 v3, 0x7c, v17
	v_and_b32_e32 v2, 3, v17
	v_cmp_ne_u32_e32 vcc, s49, v3
                                        ; implicit-def: $vgpr4
	s_and_saveexec_b64 s[78:79], vcc
	s_xor_b64 s[78:79], exec, s[78:79]
	s_cbranch_execz .LBB0_928
; %bb.927:                              ;   in Loop: Header=BB0_601 Depth=2
	v_ffbh_u32_e32 v3, v2
	v_min_u32_e32 v27, 32, v3
	v_mov_b32_e32 v18, v59
	v_subrev_u32_e32 v3, 29, v27
	v_lshlrev_b64 v[3:4], v3, v[17:18]
	v_bfe_u32 v24, v17, 2, 5
	v_and_b32_e32 v3, 3, v3
	v_cmp_eq_u32_e32 vcc, 0, v24
	v_sub_u32_e32 v4, 30, v27
	v_cndmask_b32_e32 v2, v2, v3, vcc
	v_lshlrev_b32_e32 v3, 16, v58
	v_cndmask_b32_e32 v4, v24, v4, vcc
	v_and_b32_e32 v3, 0x80000000, v3
	v_lshl_add_u32 v3, v4, 23, v3
	v_lshl_or_b32 v2, v2, 21, v3
	v_add_u32_e32 v4, 0x38000000, v2
                                        ; implicit-def: $vgpr2
.LBB0_928:                              ;   in Loop: Header=BB0_601 Depth=2
	s_andn2_saveexec_b64 s[78:79], s[78:79]
; %bb.929:                              ;   in Loop: Header=BB0_601 Depth=2
	v_cmp_lt_i16_e32 vcc, -1, v58
	v_cndmask_b32_e32 v3, v8, v54, vcc
	v_cmp_eq_u32_e32 vcc, 0, v2
	v_cndmask_b32_e32 v4, v55, v3, vcc
; %bb.930:                              ;   in Loop: Header=BB0_601 Depth=2
	s_or_b64 exec, exec, s[78:79]
.LBB0_931:                              ;   in Loop: Header=BB0_601 Depth=2
	s_or_b64 exec, exec, s[76:77]
.LBB0_932:                              ;   in Loop: Header=BB0_601 Depth=2
	s_or_b64 exec, exec, s[74:75]
	v_max_f32_e32 v2, v4, v4
	v_max_f32_e32 v0, v0, v0
	v_min_f32_e32 v4, v0, v2
.LBB0_933:                              ;   in Loop: Header=BB0_601 Depth=2
	s_or_b64 exec, exec, s[18:19]
	v_and_b32_e32 v17, 0x7f800000, v4
	v_mov_b32_e32 v18, v59
	v_cmp_ne_u64_e32 vcc, s[58:59], v[17:18]
	v_and_b32_e32 v2, 0x7fffff, v4
	v_mov_b32_e32 v3, v59
                                        ; implicit-def: $vgpr24
	s_and_saveexec_b64 s[18:19], vcc
	s_xor_b64 s[74:75], exec, s[18:19]
	s_cbranch_execz .LBB0_947
; %bb.934:                              ;   in Loop: Header=BB0_601 Depth=2
	v_and_b32_e32 v17, 0x7fffffff, v4
	v_mov_b32_e32 v18, v59
	v_cmp_gt_u64_e32 vcc, s[60:61], v[17:18]
	v_and_b32_sdwa v0, v4, s50 dst_sel:DWORD dst_unused:UNUSED_PAD src0_sel:BYTE_3 src1_sel:DWORD
                                        ; implicit-def: $vgpr24
	s_and_saveexec_b64 s[18:19], vcc
	s_xor_b64 s[76:77], exec, s[18:19]
	s_cbranch_execz .LBB0_944
; %bb.935:                              ;   in Loop: Header=BB0_601 Depth=2
	v_mov_b32_e32 v24, 0
	v_cmp_ne_u32_e32 vcc, 0, v4
	s_and_saveexec_b64 s[78:79], vcc
	s_cbranch_execz .LBB0_943
; %bb.936:                              ;   in Loop: Header=BB0_601 Depth=2
	v_bfe_u32 v17, v4, 23, 8
	v_cmp_gt_u32_e64 s[18:19], s51, v17
	v_sub_u32_e32 v4, 0x71, v17
	v_cmp_eq_u32_e32 vcc, 0, v17
	v_cndmask_b32_e64 v4, 0, v4, s[18:19]
	v_cndmask_b32_e32 v18, v4, v25, vcc
	v_add_u32_e32 v4, 21, v18
	v_or_b32_e32 v24, 0x800000, v2
	v_lshlrev_b64 v[27:28], v4, -1
	v_cndmask_b32_e32 v2, v24, v2, vcc
	v_add_u32_e32 v4, 20, v18
	v_bfi_b32 v27, v27, 0, v2
	v_lshlrev_b64 v[37:38], v4, 1
	v_lshrrev_b64 v[2:3], v18, v[2:3]
	v_bfi_b32 v28, v28, 0, 0
	v_cmp_eq_u64_e64 s[18:19], v[27:28], v[37:38]
	v_mov_b32_e32 v4, v3
	v_mov_b32_e32 v3, v2
	s_and_saveexec_b64 s[88:89], s[18:19]
; %bb.937:                              ;   in Loop: Header=BB0_601 Depth=2
	v_bfe_u32 v3, v2, 21, 1
	v_add_co_u32_e64 v3, s[18:19], v2, v3
	v_add_co_u32_e64 v3, s[18:19], -1, v3
; %bb.938:                              ;   in Loop: Header=BB0_601 Depth=2
	s_or_b64 exec, exec, s[88:89]
	v_add_u32_e32 v4, 0xffffff81, v17
	v_cndmask_b32_e32 v4, v4, v48, vcc
	v_lshrrev_b32_e32 v17, 23, v2
	v_add3_u32 v18, v18, v4, v17
	v_add_u32_e32 v17, 14, v18
	v_and_b32_e32 v3, 0x1fffff, v3
	v_add_u32_e32 v2, v3, v2
	v_mov_b32_e32 v3, v59
	v_cmp_ne_u32_e32 vcc, 0, v17
                                        ; implicit-def: $vgpr4
	s_and_saveexec_b64 s[18:19], vcc
	s_xor_b64 s[18:19], exec, s[18:19]
; %bb.939:                              ;   in Loop: Header=BB0_601 Depth=2
	v_cmp_lt_u64_e32 vcc, s[62:63], v[2:3]
	v_add_u32_e32 v4, 15, v18
	v_cndmask_b32_e32 v4, v17, v4, vcc
	v_cndmask_b32_e64 v17, 0, 1, vcc
	v_lshrrev_b64 v[2:3], v17, v[2:3]
; %bb.940:                              ;   in Loop: Header=BB0_601 Depth=2
	s_andn2_saveexec_b64 s[18:19], s[18:19]
; %bb.941:                              ;   in Loop: Header=BB0_601 Depth=2
	v_bfe_u32 v4, v2, 23, 1
; %bb.942:                              ;   in Loop: Header=BB0_601 Depth=2
	s_or_b64 exec, exec, s[18:19]
	v_lshrrev_b64 v[2:3], 21, v[2:3]
	v_cmp_gt_i32_e32 vcc, 32, v4
	v_cndmask_b32_e32 v3, 0, v3, vcc
	v_cndmask_b32_e32 v2, 3, v2, vcc
	v_cmp_eq_u64_e64 s[18:19], 0, v[2:3]
	v_min_i32_e32 v3, 31, v4
	v_lshlrev_b32_e32 v3, 2, v3
	v_cmp_eq_u32_e32 vcc, 0, v4
	v_and_b32_e32 v3, 0xfc, v3
	v_and_or_b32 v2, v2, 3, v3
	s_and_b64 s[18:19], vcc, s[18:19]
	v_cndmask_b32_e64 v2, v2, 0, s[18:19]
	v_or_b32_e32 v24, v2, v0
.LBB0_943:                              ;   in Loop: Header=BB0_601 Depth=2
	s_or_b64 exec, exec, s[78:79]
                                        ; implicit-def: $vgpr0
.LBB0_944:                              ;   in Loop: Header=BB0_601 Depth=2
	s_andn2_saveexec_b64 s[18:19], s[76:77]
; %bb.945:                              ;   in Loop: Header=BB0_601 Depth=2
	v_or_b32_e32 v24, 0x7b, v0
; %bb.946:                              ;   in Loop: Header=BB0_601 Depth=2
	s_or_b64 exec, exec, s[18:19]
                                        ; implicit-def: $vgpr4
                                        ; implicit-def: $vgpr2_vgpr3
.LBB0_947:                              ;   in Loop: Header=BB0_601 Depth=2
	s_andn2_saveexec_b64 s[18:19], s[74:75]
	s_cbranch_execz .LBB0_953
; %bb.948:                              ;   in Loop: Header=BB0_601 Depth=2
	v_cmp_ne_u64_e32 vcc, 0, v[2:3]
                                        ; implicit-def: $vgpr24
	s_and_saveexec_b64 s[74:75], vcc
	s_xor_b64 s[74:75], exec, s[74:75]
; %bb.949:                              ;   in Loop: Header=BB0_601 Depth=2
	v_or_b32_sdwa v24, v4, s52 dst_sel:DWORD dst_unused:UNUSED_PAD src0_sel:BYTE_3 src1_sel:DWORD
                                        ; implicit-def: $vgpr4
; %bb.950:                              ;   in Loop: Header=BB0_601 Depth=2
	s_andn2_saveexec_b64 s[74:75], s[74:75]
; %bb.951:                              ;   in Loop: Header=BB0_601 Depth=2
	v_cmp_lt_i32_e32 vcc, -1, v4
	v_cndmask_b32_e32 v24, v49, v31, vcc
; %bb.952:                              ;   in Loop: Header=BB0_601 Depth=2
	s_or_b64 exec, exec, s[74:75]
.LBB0_953:                              ;   in Loop: Header=BB0_601 Depth=2
	s_or_b64 exec, exec, s[18:19]
	v_lshrrev_b32_e32 v17, 16, v19
	v_lshrrev_b32_e32 v0, 16, v58
	v_cmp_ne_u16_sdwa s[18:19], v17, v59 src0_sel:BYTE_0 src1_sel:DWORD
                                        ; implicit-def: $vgpr4
	s_and_saveexec_b64 s[74:75], s[14:15]
	s_xor_b64 s[74:75], exec, s[74:75]
	s_cbranch_execz .LBB0_971
; %bb.954:                              ;   in Loop: Header=BB0_601 Depth=2
	v_mov_b32_e32 v3, 0
	v_mov_b32_e32 v2, 0
	s_and_saveexec_b64 s[76:77], s[18:19]
	s_cbranch_execz .LBB0_962
; %bb.955:                              ;   in Loop: Header=BB0_601 Depth=2
	v_cmp_ne_u16_sdwa s[88:89], v17, s50 src0_sel:BYTE_0 src1_sel:DWORD
	v_bfrev_b32_e32 v2, 1
	s_and_saveexec_b64 s[78:79], s[88:89]
	s_cbranch_execz .LBB0_961
; %bb.956:                              ;   in Loop: Header=BB0_601 Depth=2
	v_and_b32_e32 v2, 0x7c0000, v19
	v_bfe_u32 v4, v19, 16, 2
	v_cmp_ne_u32_e32 vcc, s53, v2
                                        ; implicit-def: $vgpr2
	s_and_saveexec_b64 s[88:89], vcc
	s_xor_b64 s[88:89], exec, s[88:89]
	s_cbranch_execz .LBB0_958
; %bb.957:                              ;   in Loop: Header=BB0_601 Depth=2
	v_ffbh_u32_e32 v18, v4
	v_min_u32_e32 v18, 32, v18
	v_subrev_u32_e32 v27, 29, v18
	v_bfe_u32 v2, v19, 18, 5
	v_lshlrev_b64 v[27:28], v27, v[17:18]
	v_sub_u32_e32 v18, 30, v18
	v_cmp_eq_u32_e32 vcc, 0, v2
	v_lshlrev_b32_e32 v17, 24, v17
	v_and_b32_e32 v27, 3, v27
	v_cndmask_b32_e32 v2, v2, v18, vcc
	v_and_b32_e32 v17, 0x80000000, v17
	v_cndmask_b32_e32 v4, v4, v27, vcc
	v_lshl_add_u32 v2, v2, 23, v17
	v_lshl_or_b32 v2, v4, 21, v2
	v_add_u32_e32 v2, 0x38000000, v2
                                        ; implicit-def: $vgpr4
                                        ; implicit-def: $vgpr17
.LBB0_958:                              ;   in Loop: Header=BB0_601 Depth=2
	s_andn2_saveexec_b64 s[88:89], s[88:89]
; %bb.959:                              ;   in Loop: Header=BB0_601 Depth=2
	v_cmp_gt_i16_sdwa vcc, sext(v17), v43 src0_sel:BYTE_0 src1_sel:DWORD
	v_cndmask_b32_e32 v2, v8, v54, vcc
	v_cmp_eq_u32_e32 vcc, 0, v4
	v_cndmask_b32_e32 v2, v55, v2, vcc
; %bb.960:                              ;   in Loop: Header=BB0_601 Depth=2
	s_or_b64 exec, exec, s[88:89]
.LBB0_961:                              ;   in Loop: Header=BB0_601 Depth=2
	s_or_b64 exec, exec, s[78:79]
.LBB0_962:                              ;   in Loop: Header=BB0_601 Depth=2
	s_or_b64 exec, exec, s[76:77]
	v_and_b32_sdwa v4, v58, s39 dst_sel:DWORD dst_unused:UNUSED_PAD src0_sel:WORD_1 src1_sel:DWORD
	v_cmp_ne_u16_e32 vcc, 0, v4
	s_and_saveexec_b64 s[76:77], vcc
	s_cbranch_execz .LBB0_970
; %bb.963:                              ;   in Loop: Header=BB0_601 Depth=2
	v_cmp_ne_u16_e32 vcc, s50, v4
	v_bfrev_b32_e32 v3, 1
	s_and_saveexec_b64 s[78:79], vcc
	s_cbranch_execz .LBB0_969
; %bb.964:                              ;   in Loop: Header=BB0_601 Depth=2
	v_and_b32_e32 v3, 0x7c0000, v58
	v_bfe_u32 v4, v58, 16, 2
	v_cmp_ne_u32_e32 vcc, s53, v3
                                        ; implicit-def: $vgpr3
	s_and_saveexec_b64 s[88:89], vcc
	s_xor_b64 s[88:89], exec, s[88:89]
	s_cbranch_execz .LBB0_966
; %bb.965:                              ;   in Loop: Header=BB0_601 Depth=2
	v_ffbh_u32_e32 v17, v4
	v_min_u32_e32 v27, 32, v17
	v_subrev_u32_e32 v17, 29, v27
	v_bfe_u32 v3, v58, 18, 5
	v_lshlrev_b64 v[17:18], v17, v[0:1]
	v_sub_u32_e32 v18, 30, v27
	v_cmp_eq_u32_e32 vcc, 0, v3
	v_lshlrev_b32_e32 v0, 24, v0
	v_and_b32_e32 v17, 3, v17
	v_cndmask_b32_e32 v3, v3, v18, vcc
	v_and_b32_e32 v0, 0x80000000, v0
	v_cndmask_b32_e32 v4, v4, v17, vcc
	v_lshl_add_u32 v0, v3, 23, v0
	v_lshl_or_b32 v0, v4, 21, v0
	v_add_u32_e32 v3, 0x38000000, v0
                                        ; implicit-def: $vgpr4
                                        ; implicit-def: $vgpr0
.LBB0_966:                              ;   in Loop: Header=BB0_601 Depth=2
	s_andn2_saveexec_b64 s[88:89], s[88:89]
; %bb.967:                              ;   in Loop: Header=BB0_601 Depth=2
	v_cmp_gt_i16_sdwa vcc, sext(v0), v43 src0_sel:BYTE_0 src1_sel:DWORD
	v_cndmask_b32_e32 v0, v8, v54, vcc
	v_cmp_eq_u32_e32 vcc, 0, v4
	v_cndmask_b32_e32 v3, v55, v0, vcc
; %bb.968:                              ;   in Loop: Header=BB0_601 Depth=2
	s_or_b64 exec, exec, s[88:89]
.LBB0_969:                              ;   in Loop: Header=BB0_601 Depth=2
	s_or_b64 exec, exec, s[78:79]
.LBB0_970:                              ;   in Loop: Header=BB0_601 Depth=2
	s_or_b64 exec, exec, s[76:77]
	v_max_f32_e32 v0, v3, v3
	v_max_f32_e32 v2, v2, v2
	;; [unrolled: 1-line block ×3, first 2 shown]
                                        ; implicit-def: $vgpr17
                                        ; implicit-def: $vgpr0
.LBB0_971:                              ;   in Loop: Header=BB0_601 Depth=2
	s_andn2_saveexec_b64 s[74:75], s[74:75]
	s_cbranch_execz .LBB0_989
; %bb.972:                              ;   in Loop: Header=BB0_601 Depth=2
	v_mov_b32_e32 v3, 0
	v_mov_b32_e32 v2, 0
	s_and_saveexec_b64 s[76:77], s[18:19]
	s_cbranch_execz .LBB0_980
; %bb.973:                              ;   in Loop: Header=BB0_601 Depth=2
	v_cmp_ne_u16_sdwa s[78:79], v17, s50 src0_sel:BYTE_0 src1_sel:DWORD
	v_bfrev_b32_e32 v2, 1
	s_and_saveexec_b64 s[18:19], s[78:79]
	s_cbranch_execz .LBB0_979
; %bb.974:                              ;   in Loop: Header=BB0_601 Depth=2
	v_and_b32_e32 v2, 0x7c0000, v19
	v_bfe_u32 v4, v19, 16, 2
	v_cmp_ne_u32_e32 vcc, s53, v2
                                        ; implicit-def: $vgpr2
	s_and_saveexec_b64 s[78:79], vcc
	s_xor_b64 s[78:79], exec, s[78:79]
	s_cbranch_execz .LBB0_976
; %bb.975:                              ;   in Loop: Header=BB0_601 Depth=2
	v_ffbh_u32_e32 v18, v4
	v_min_u32_e32 v18, 32, v18
	v_subrev_u32_e32 v27, 29, v18
	v_bfe_u32 v2, v19, 18, 5
	v_lshlrev_b64 v[27:28], v27, v[17:18]
	v_sub_u32_e32 v18, 30, v18
	v_cmp_eq_u32_e32 vcc, 0, v2
	v_lshlrev_b32_e32 v17, 24, v17
	v_and_b32_e32 v27, 3, v27
	v_cndmask_b32_e32 v2, v2, v18, vcc
	v_and_b32_e32 v17, 0x80000000, v17
	v_cndmask_b32_e32 v4, v4, v27, vcc
	v_lshl_add_u32 v2, v2, 23, v17
	v_lshl_or_b32 v2, v4, 21, v2
	v_add_u32_e32 v2, 0x38000000, v2
                                        ; implicit-def: $vgpr4
                                        ; implicit-def: $vgpr17
.LBB0_976:                              ;   in Loop: Header=BB0_601 Depth=2
	s_andn2_saveexec_b64 s[78:79], s[78:79]
; %bb.977:                              ;   in Loop: Header=BB0_601 Depth=2
	v_cmp_gt_i16_sdwa vcc, sext(v17), v43 src0_sel:BYTE_0 src1_sel:DWORD
	v_cndmask_b32_e32 v2, v8, v54, vcc
	v_cmp_eq_u32_e32 vcc, 0, v4
	v_cndmask_b32_e32 v2, v55, v2, vcc
; %bb.978:                              ;   in Loop: Header=BB0_601 Depth=2
	s_or_b64 exec, exec, s[78:79]
.LBB0_979:                              ;   in Loop: Header=BB0_601 Depth=2
	s_or_b64 exec, exec, s[18:19]
.LBB0_980:                              ;   in Loop: Header=BB0_601 Depth=2
	s_or_b64 exec, exec, s[76:77]
	v_and_b32_sdwa v4, v58, s39 dst_sel:DWORD dst_unused:UNUSED_PAD src0_sel:WORD_1 src1_sel:DWORD
	v_cmp_ne_u16_e32 vcc, 0, v4
	s_and_saveexec_b64 s[18:19], vcc
	s_cbranch_execz .LBB0_988
; %bb.981:                              ;   in Loop: Header=BB0_601 Depth=2
	v_cmp_ne_u16_e32 vcc, s50, v4
	v_bfrev_b32_e32 v3, 1
	s_and_saveexec_b64 s[76:77], vcc
	s_cbranch_execz .LBB0_987
; %bb.982:                              ;   in Loop: Header=BB0_601 Depth=2
	v_and_b32_e32 v3, 0x7c0000, v58
	v_bfe_u32 v4, v58, 16, 2
	v_cmp_ne_u32_e32 vcc, s53, v3
                                        ; implicit-def: $vgpr3
	s_and_saveexec_b64 s[78:79], vcc
	s_xor_b64 s[78:79], exec, s[78:79]
	s_cbranch_execz .LBB0_984
; %bb.983:                              ;   in Loop: Header=BB0_601 Depth=2
	v_ffbh_u32_e32 v17, v4
	v_min_u32_e32 v27, 32, v17
	v_subrev_u32_e32 v17, 29, v27
	v_bfe_u32 v3, v58, 18, 5
	v_lshlrev_b64 v[17:18], v17, v[0:1]
	v_sub_u32_e32 v18, 30, v27
	v_cmp_eq_u32_e32 vcc, 0, v3
	v_lshlrev_b32_e32 v0, 24, v0
	v_and_b32_e32 v17, 3, v17
	v_cndmask_b32_e32 v3, v3, v18, vcc
	v_and_b32_e32 v0, 0x80000000, v0
	v_cndmask_b32_e32 v4, v4, v17, vcc
	v_lshl_add_u32 v0, v3, 23, v0
	v_lshl_or_b32 v0, v4, 21, v0
	v_add_u32_e32 v3, 0x38000000, v0
                                        ; implicit-def: $vgpr4
                                        ; implicit-def: $vgpr0
.LBB0_984:                              ;   in Loop: Header=BB0_601 Depth=2
	s_andn2_saveexec_b64 s[78:79], s[78:79]
; %bb.985:                              ;   in Loop: Header=BB0_601 Depth=2
	v_cmp_gt_i16_sdwa vcc, sext(v0), v43 src0_sel:BYTE_0 src1_sel:DWORD
	v_cndmask_b32_e32 v0, v8, v54, vcc
	v_cmp_eq_u32_e32 vcc, 0, v4
	v_cndmask_b32_e32 v3, v55, v0, vcc
; %bb.986:                              ;   in Loop: Header=BB0_601 Depth=2
	s_or_b64 exec, exec, s[78:79]
.LBB0_987:                              ;   in Loop: Header=BB0_601 Depth=2
	s_or_b64 exec, exec, s[76:77]
.LBB0_988:                              ;   in Loop: Header=BB0_601 Depth=2
	s_or_b64 exec, exec, s[18:19]
	v_max_f32_e32 v0, v3, v3
	v_max_f32_e32 v2, v2, v2
	v_min_f32_e32 v4, v2, v0
.LBB0_989:                              ;   in Loop: Header=BB0_601 Depth=2
	s_or_b64 exec, exec, s[74:75]
	v_and_b32_e32 v17, 0x7f800000, v4
	v_mov_b32_e32 v18, v59
	v_cmp_ne_u64_e32 vcc, s[58:59], v[17:18]
	v_and_b32_e32 v2, 0x7fffff, v4
	v_mov_b32_e32 v3, v59
                                        ; implicit-def: $vgpr33
	s_and_saveexec_b64 s[18:19], vcc
	s_xor_b64 s[74:75], exec, s[18:19]
	s_cbranch_execz .LBB0_1003
; %bb.990:                              ;   in Loop: Header=BB0_601 Depth=2
	v_and_b32_e32 v17, 0x7fffffff, v4
	v_mov_b32_e32 v18, v59
	v_cmp_gt_u64_e32 vcc, s[60:61], v[17:18]
	v_and_b32_sdwa v0, v4, s50 dst_sel:DWORD dst_unused:UNUSED_PAD src0_sel:BYTE_3 src1_sel:DWORD
                                        ; implicit-def: $vgpr33
	s_and_saveexec_b64 s[18:19], vcc
	s_xor_b64 s[76:77], exec, s[18:19]
	s_cbranch_execz .LBB0_1000
; %bb.991:                              ;   in Loop: Header=BB0_601 Depth=2
	v_mov_b32_e32 v33, 0
	v_cmp_ne_u32_e32 vcc, 0, v4
	s_and_saveexec_b64 s[78:79], vcc
	s_cbranch_execz .LBB0_999
; %bb.992:                              ;   in Loop: Header=BB0_601 Depth=2
	v_bfe_u32 v17, v4, 23, 8
	v_cmp_gt_u32_e64 s[18:19], s51, v17
	v_sub_u32_e32 v4, 0x71, v17
	v_cmp_eq_u32_e32 vcc, 0, v17
	v_cndmask_b32_e64 v4, 0, v4, s[18:19]
	v_cndmask_b32_e32 v18, v4, v25, vcc
	v_or_b32_e32 v27, 0x800000, v2
	v_add_u32_e32 v4, 21, v18
	v_cndmask_b32_e32 v2, v27, v2, vcc
	v_lshlrev_b64 v[27:28], v4, -1
	v_add_u32_e32 v4, 20, v18
	v_bfi_b32 v27, v27, 0, v2
	v_lshlrev_b64 v[37:38], v4, 1
	v_lshrrev_b64 v[2:3], v18, v[2:3]
	v_bfi_b32 v28, v28, 0, 0
	v_cmp_eq_u64_e64 s[18:19], v[27:28], v[37:38]
	v_mov_b32_e32 v4, v3
	v_mov_b32_e32 v3, v2
	s_and_saveexec_b64 s[88:89], s[18:19]
; %bb.993:                              ;   in Loop: Header=BB0_601 Depth=2
	v_bfe_u32 v3, v2, 21, 1
	v_add_co_u32_e64 v3, s[18:19], v2, v3
	v_add_co_u32_e64 v3, s[18:19], -1, v3
; %bb.994:                              ;   in Loop: Header=BB0_601 Depth=2
	s_or_b64 exec, exec, s[88:89]
	v_add_u32_e32 v4, 0xffffff81, v17
	v_cndmask_b32_e32 v4, v4, v48, vcc
	v_lshrrev_b32_e32 v17, 23, v2
	v_add3_u32 v18, v18, v4, v17
	v_add_u32_e32 v17, 14, v18
	v_and_b32_e32 v3, 0x1fffff, v3
	v_add_u32_e32 v2, v3, v2
	v_mov_b32_e32 v3, v59
	v_cmp_ne_u32_e32 vcc, 0, v17
                                        ; implicit-def: $vgpr4
	s_and_saveexec_b64 s[18:19], vcc
	s_xor_b64 s[18:19], exec, s[18:19]
; %bb.995:                              ;   in Loop: Header=BB0_601 Depth=2
	v_cmp_lt_u64_e32 vcc, s[62:63], v[2:3]
	v_add_u32_e32 v4, 15, v18
	v_cndmask_b32_e32 v4, v17, v4, vcc
	v_cndmask_b32_e64 v17, 0, 1, vcc
	v_lshrrev_b64 v[2:3], v17, v[2:3]
; %bb.996:                              ;   in Loop: Header=BB0_601 Depth=2
	s_andn2_saveexec_b64 s[18:19], s[18:19]
; %bb.997:                              ;   in Loop: Header=BB0_601 Depth=2
	v_bfe_u32 v4, v2, 23, 1
; %bb.998:                              ;   in Loop: Header=BB0_601 Depth=2
	s_or_b64 exec, exec, s[18:19]
	v_lshrrev_b64 v[2:3], 21, v[2:3]
	v_cmp_gt_i32_e32 vcc, 32, v4
	v_cndmask_b32_e32 v3, 0, v3, vcc
	v_cndmask_b32_e32 v2, 3, v2, vcc
	v_cmp_eq_u64_e64 s[18:19], 0, v[2:3]
	v_min_i32_e32 v3, 31, v4
	v_lshlrev_b32_e32 v3, 2, v3
	v_cmp_eq_u32_e32 vcc, 0, v4
	v_and_b32_e32 v3, 0xfc, v3
	v_and_or_b32 v2, v2, 3, v3
	s_and_b64 s[18:19], vcc, s[18:19]
	v_cndmask_b32_e64 v2, v2, 0, s[18:19]
	v_or_b32_e32 v33, v2, v0
.LBB0_999:                              ;   in Loop: Header=BB0_601 Depth=2
	s_or_b64 exec, exec, s[78:79]
                                        ; implicit-def: $vgpr0
.LBB0_1000:                             ;   in Loop: Header=BB0_601 Depth=2
	s_andn2_saveexec_b64 s[18:19], s[76:77]
; %bb.1001:                             ;   in Loop: Header=BB0_601 Depth=2
	v_or_b32_e32 v33, 0x7b, v0
; %bb.1002:                             ;   in Loop: Header=BB0_601 Depth=2
	s_or_b64 exec, exec, s[18:19]
                                        ; implicit-def: $vgpr4
                                        ; implicit-def: $vgpr2_vgpr3
.LBB0_1003:                             ;   in Loop: Header=BB0_601 Depth=2
	s_andn2_saveexec_b64 s[18:19], s[74:75]
	s_cbranch_execz .LBB0_1009
; %bb.1004:                             ;   in Loop: Header=BB0_601 Depth=2
	v_cmp_ne_u64_e32 vcc, 0, v[2:3]
                                        ; implicit-def: $vgpr33
	s_and_saveexec_b64 s[74:75], vcc
	s_xor_b64 s[74:75], exec, s[74:75]
; %bb.1005:                             ;   in Loop: Header=BB0_601 Depth=2
	v_or_b32_sdwa v33, v4, s52 dst_sel:DWORD dst_unused:UNUSED_PAD src0_sel:BYTE_3 src1_sel:DWORD
                                        ; implicit-def: $vgpr4
; %bb.1006:                             ;   in Loop: Header=BB0_601 Depth=2
	s_andn2_saveexec_b64 s[74:75], s[74:75]
; %bb.1007:                             ;   in Loop: Header=BB0_601 Depth=2
	v_cmp_lt_i32_e32 vcc, -1, v4
	v_cndmask_b32_e32 v33, v49, v31, vcc
; %bb.1008:                             ;   in Loop: Header=BB0_601 Depth=2
	s_or_b64 exec, exec, s[74:75]
.LBB0_1009:                             ;   in Loop: Header=BB0_601 Depth=2
	s_or_b64 exec, exec, s[18:19]
	v_mov_b32_e32 v18, v59
	v_cmp_lt_u64_e32 vcc, s[56:57], v[18:19]
	v_lshrrev_b32_e32 v17, 24, v19
	v_lshrrev_b32_e32 v0, 24, v58
	v_mov_b32_e32 v27, v59
	v_mov_b32_e32 v28, v58
                                        ; implicit-def: $vgpr2
	s_and_saveexec_b64 s[18:19], s[14:15]
	s_xor_b64 s[74:75], exec, s[18:19]
	s_cbranch_execz .LBB0_1027
; %bb.1010:                             ;   in Loop: Header=BB0_601 Depth=2
	v_mov_b32_e32 v3, 0
	v_mov_b32_e32 v2, 0
	s_and_saveexec_b64 s[76:77], vcc
	s_cbranch_execz .LBB0_1018
; %bb.1011:                             ;   in Loop: Header=BB0_601 Depth=2
	v_cmp_ne_u32_e64 s[18:19], s50, v17
	v_bfrev_b32_e32 v2, 1
	s_and_saveexec_b64 s[78:79], s[18:19]
	s_cbranch_execz .LBB0_1017
; %bb.1012:                             ;   in Loop: Header=BB0_601 Depth=2
	v_and_b32_e32 v2, 0x7c000000, v19
	v_bfe_u32 v4, v19, 24, 2
	v_cmp_ne_u32_e64 s[18:19], s54, v2
                                        ; implicit-def: $vgpr2
	s_and_saveexec_b64 s[88:89], s[18:19]
	s_xor_b64 s[88:89], exec, s[88:89]
	s_cbranch_execz .LBB0_1014
; %bb.1013:                             ;   in Loop: Header=BB0_601 Depth=2
	v_ffbh_u32_e32 v18, v4
	v_min_u32_e32 v37, 32, v18
	v_subrev_u32_e32 v18, 29, v37
	v_lshlrev_b64 v[17:18], v18, v[17:18]
	v_bfe_u32 v2, v19, 26, 5
	v_sub_u32_e32 v18, 30, v37
	v_and_b32_e32 v17, 3, v17
	v_cmp_eq_u32_e64 s[18:19], 0, v2
	v_cndmask_b32_e64 v2, v2, v18, s[18:19]
	v_cndmask_b32_e64 v4, v4, v17, s[18:19]
	v_and_b32_e32 v17, 0x80000000, v19
	v_lshl_add_u32 v2, v2, 23, v17
	v_lshl_or_b32 v2, v4, 21, v2
	v_add_u32_e32 v2, 0x38000000, v2
                                        ; implicit-def: $vgpr4
                                        ; implicit-def: $vgpr18_vgpr19
.LBB0_1014:                             ;   in Loop: Header=BB0_601 Depth=2
	s_andn2_saveexec_b64 s[88:89], s[88:89]
; %bb.1015:                             ;   in Loop: Header=BB0_601 Depth=2
	v_cmp_lt_i64_e64 s[18:19], -1, v[18:19]
	v_cndmask_b32_e64 v2, v8, v54, s[18:19]
	v_cmp_eq_u32_e64 s[18:19], 0, v4
	v_cndmask_b32_e64 v2, v55, v2, s[18:19]
; %bb.1016:                             ;   in Loop: Header=BB0_601 Depth=2
	s_or_b64 exec, exec, s[88:89]
.LBB0_1017:                             ;   in Loop: Header=BB0_601 Depth=2
	s_or_b64 exec, exec, s[78:79]
.LBB0_1018:                             ;   in Loop: Header=BB0_601 Depth=2
	s_or_b64 exec, exec, s[76:77]
	v_cmp_lt_u32_e64 s[18:19], s57, v58
	s_and_saveexec_b64 s[76:77], s[18:19]
	s_cbranch_execz .LBB0_1026
; %bb.1019:                             ;   in Loop: Header=BB0_601 Depth=2
	v_cmp_ne_u32_e64 s[18:19], s50, v0
	v_bfrev_b32_e32 v3, 1
	s_and_saveexec_b64 s[78:79], s[18:19]
	s_cbranch_execz .LBB0_1025
; %bb.1020:                             ;   in Loop: Header=BB0_601 Depth=2
	v_and_b32_e32 v3, 0x7c000000, v58
	v_bfe_u32 v4, v58, 24, 2
	v_cmp_ne_u32_e64 s[18:19], s54, v3
                                        ; implicit-def: $vgpr3
	s_and_saveexec_b64 s[88:89], s[18:19]
	s_xor_b64 s[88:89], exec, s[88:89]
	s_cbranch_execz .LBB0_1022
; %bb.1021:                             ;   in Loop: Header=BB0_601 Depth=2
	v_ffbh_u32_e32 v17, v4
	v_min_u32_e32 v19, 32, v17
	v_subrev_u32_e32 v17, 29, v19
	v_lshlrev_b64 v[17:18], v17, v[0:1]
	v_bfe_u32 v3, v58, 26, 5
	v_sub_u32_e32 v0, 30, v19
	v_and_b32_e32 v17, 3, v17
	v_cmp_eq_u32_e64 s[18:19], 0, v3
	v_cndmask_b32_e64 v0, v3, v0, s[18:19]
	v_cndmask_b32_e64 v3, v4, v17, s[18:19]
	v_and_b32_e32 v4, 0x80000000, v58
	v_lshl_add_u32 v0, v0, 23, v4
	v_lshl_or_b32 v0, v3, 21, v0
	v_add_u32_e32 v3, 0x38000000, v0
                                        ; implicit-def: $vgpr4
                                        ; implicit-def: $vgpr27_vgpr28
.LBB0_1022:                             ;   in Loop: Header=BB0_601 Depth=2
	s_andn2_saveexec_b64 s[88:89], s[88:89]
; %bb.1023:                             ;   in Loop: Header=BB0_601 Depth=2
	v_cmp_lt_i64_e64 s[18:19], -1, v[27:28]
	v_cndmask_b32_e64 v0, v8, v54, s[18:19]
	v_cmp_eq_u32_e64 s[18:19], 0, v4
	v_cndmask_b32_e64 v3, v55, v0, s[18:19]
; %bb.1024:                             ;   in Loop: Header=BB0_601 Depth=2
	s_or_b64 exec, exec, s[88:89]
.LBB0_1025:                             ;   in Loop: Header=BB0_601 Depth=2
	s_or_b64 exec, exec, s[78:79]
.LBB0_1026:                             ;   in Loop: Header=BB0_601 Depth=2
	s_or_b64 exec, exec, s[76:77]
	v_max_f32_e32 v0, v3, v3
	v_max_f32_e32 v2, v2, v2
	;; [unrolled: 1-line block ×3, first 2 shown]
                                        ; implicit-def: $vgpr0
                                        ; implicit-def: $vgpr17
                                        ; implicit-def: $vgpr27_vgpr28
                                        ; implicit-def: $vgpr18_vgpr19
.LBB0_1027:                             ;   in Loop: Header=BB0_601 Depth=2
	s_andn2_saveexec_b64 s[18:19], s[74:75]
	s_cbranch_execz .LBB0_1045
; %bb.1028:                             ;   in Loop: Header=BB0_601 Depth=2
	v_mov_b32_e32 v3, 0
	v_mov_b32_e32 v2, 0
	s_and_saveexec_b64 s[74:75], vcc
	s_cbranch_execz .LBB0_1036
; %bb.1029:                             ;   in Loop: Header=BB0_601 Depth=2
	v_cmp_ne_u32_e32 vcc, s50, v17
	v_bfrev_b32_e32 v2, 1
	s_and_saveexec_b64 s[76:77], vcc
	s_cbranch_execz .LBB0_1035
; %bb.1030:                             ;   in Loop: Header=BB0_601 Depth=2
	v_and_b32_e32 v2, 0x7c000000, v19
	v_bfe_u32 v4, v19, 24, 2
	v_cmp_ne_u32_e32 vcc, s54, v2
                                        ; implicit-def: $vgpr2
	s_and_saveexec_b64 s[78:79], vcc
	s_xor_b64 s[78:79], exec, s[78:79]
	s_cbranch_execz .LBB0_1032
; %bb.1031:                             ;   in Loop: Header=BB0_601 Depth=2
	v_ffbh_u32_e32 v18, v4
	v_min_u32_e32 v37, 32, v18
	v_subrev_u32_e32 v18, 29, v37
	v_lshlrev_b64 v[17:18], v18, v[17:18]
	v_bfe_u32 v2, v19, 26, 5
	v_sub_u32_e32 v18, 30, v37
	v_and_b32_e32 v17, 3, v17
	v_cmp_eq_u32_e32 vcc, 0, v2
	v_cndmask_b32_e32 v2, v2, v18, vcc
	v_cndmask_b32_e32 v4, v4, v17, vcc
	v_and_b32_e32 v17, 0x80000000, v19
	v_lshl_add_u32 v2, v2, 23, v17
	v_lshl_or_b32 v2, v4, 21, v2
	v_add_u32_e32 v2, 0x38000000, v2
                                        ; implicit-def: $vgpr4
                                        ; implicit-def: $vgpr18_vgpr19
.LBB0_1032:                             ;   in Loop: Header=BB0_601 Depth=2
	s_andn2_saveexec_b64 s[78:79], s[78:79]
; %bb.1033:                             ;   in Loop: Header=BB0_601 Depth=2
	v_cmp_lt_i64_e32 vcc, -1, v[18:19]
	v_cndmask_b32_e32 v2, v8, v54, vcc
	v_cmp_eq_u32_e32 vcc, 0, v4
	v_cndmask_b32_e32 v2, v55, v2, vcc
; %bb.1034:                             ;   in Loop: Header=BB0_601 Depth=2
	s_or_b64 exec, exec, s[78:79]
.LBB0_1035:                             ;   in Loop: Header=BB0_601 Depth=2
	s_or_b64 exec, exec, s[76:77]
.LBB0_1036:                             ;   in Loop: Header=BB0_601 Depth=2
	s_or_b64 exec, exec, s[74:75]
	v_cmp_lt_u32_e32 vcc, s57, v58
	s_and_saveexec_b64 s[74:75], vcc
	s_cbranch_execz .LBB0_1044
; %bb.1037:                             ;   in Loop: Header=BB0_601 Depth=2
	v_cmp_ne_u32_e32 vcc, s50, v0
	v_bfrev_b32_e32 v3, 1
	s_and_saveexec_b64 s[76:77], vcc
	s_cbranch_execz .LBB0_1043
; %bb.1038:                             ;   in Loop: Header=BB0_601 Depth=2
	v_and_b32_e32 v3, 0x7c000000, v58
	v_bfe_u32 v4, v58, 24, 2
	v_cmp_ne_u32_e32 vcc, s54, v3
                                        ; implicit-def: $vgpr3
	s_and_saveexec_b64 s[78:79], vcc
	s_xor_b64 s[78:79], exec, s[78:79]
	s_cbranch_execz .LBB0_1040
; %bb.1039:                             ;   in Loop: Header=BB0_601 Depth=2
	v_ffbh_u32_e32 v17, v4
	v_min_u32_e32 v19, 32, v17
	v_subrev_u32_e32 v17, 29, v19
	v_lshlrev_b64 v[17:18], v17, v[0:1]
	v_bfe_u32 v3, v58, 26, 5
	v_sub_u32_e32 v0, 30, v19
	v_and_b32_e32 v17, 3, v17
	v_cmp_eq_u32_e32 vcc, 0, v3
	v_cndmask_b32_e32 v0, v3, v0, vcc
	v_cndmask_b32_e32 v3, v4, v17, vcc
	v_and_b32_e32 v4, 0x80000000, v58
	v_lshl_add_u32 v0, v0, 23, v4
	v_lshl_or_b32 v0, v3, 21, v0
	v_add_u32_e32 v3, 0x38000000, v0
                                        ; implicit-def: $vgpr4
                                        ; implicit-def: $vgpr27_vgpr28
.LBB0_1040:                             ;   in Loop: Header=BB0_601 Depth=2
	s_andn2_saveexec_b64 s[78:79], s[78:79]
; %bb.1041:                             ;   in Loop: Header=BB0_601 Depth=2
	v_cmp_lt_i64_e32 vcc, -1, v[27:28]
	v_cndmask_b32_e32 v0, v8, v54, vcc
	v_cmp_eq_u32_e32 vcc, 0, v4
	v_cndmask_b32_e32 v3, v55, v0, vcc
; %bb.1042:                             ;   in Loop: Header=BB0_601 Depth=2
	s_or_b64 exec, exec, s[78:79]
.LBB0_1043:                             ;   in Loop: Header=BB0_601 Depth=2
	s_or_b64 exec, exec, s[76:77]
.LBB0_1044:                             ;   in Loop: Header=BB0_601 Depth=2
	s_or_b64 exec, exec, s[74:75]
	v_max_f32_e32 v0, v3, v3
	v_max_f32_e32 v2, v2, v2
	v_min_f32_e32 v2, v2, v0
.LBB0_1045:                             ;   in Loop: Header=BB0_601 Depth=2
	s_or_b64 exec, exec, s[18:19]
	v_and_b32_e32 v3, 0x7f800000, v2
	v_mov_b32_e32 v4, v59
	v_cmp_ne_u64_e32 vcc, s[58:59], v[3:4]
	v_and_b32_e32 v58, 0x7fffff, v2
                                        ; implicit-def: $vgpr3
	s_and_saveexec_b64 s[18:19], vcc
	s_xor_b64 s[74:75], exec, s[18:19]
	s_cbranch_execz .LBB0_1059
; %bb.1046:                             ;   in Loop: Header=BB0_601 Depth=2
	v_and_b32_e32 v3, 0x7fffffff, v2
	v_mov_b32_e32 v4, v59
	v_cmp_gt_u64_e32 vcc, s[60:61], v[3:4]
	v_and_b32_sdwa v0, v2, s50 dst_sel:DWORD dst_unused:UNUSED_PAD src0_sel:BYTE_3 src1_sel:DWORD
                                        ; implicit-def: $vgpr3
	s_and_saveexec_b64 s[18:19], vcc
	s_xor_b64 s[76:77], exec, s[18:19]
	s_cbranch_execz .LBB0_1056
; %bb.1047:                             ;   in Loop: Header=BB0_601 Depth=2
	v_mov_b32_e32 v3, 0
	v_cmp_ne_u32_e32 vcc, 0, v2
	s_and_saveexec_b64 s[78:79], vcc
	s_cbranch_execz .LBB0_1055
; %bb.1048:                             ;   in Loop: Header=BB0_601 Depth=2
	v_bfe_u32 v17, v2, 23, 8
	v_cmp_gt_u32_e64 s[18:19], s51, v17
	v_sub_u32_e32 v2, 0x71, v17
	v_cmp_eq_u32_e32 vcc, 0, v17
	v_cndmask_b32_e64 v2, 0, v2, s[18:19]
	v_cndmask_b32_e32 v18, v2, v25, vcc
	v_or_b32_e32 v3, 0x800000, v58
	v_add_u32_e32 v2, 21, v18
	v_cndmask_b32_e32 v58, v3, v58, vcc
	v_lshlrev_b64 v[2:3], v2, -1
	v_add_u32_e32 v4, 20, v18
	v_lshlrev_b64 v[27:28], v4, 1
	v_bfi_b32 v3, v3, 0, 0
	v_bfi_b32 v2, v2, 0, v58
	v_cmp_eq_u64_e64 s[18:19], v[2:3], v[27:28]
	v_lshrrev_b64 v[2:3], v18, v[58:59]
	v_mov_b32_e32 v4, v3
	v_mov_b32_e32 v3, v2
	s_and_saveexec_b64 s[88:89], s[18:19]
; %bb.1049:                             ;   in Loop: Header=BB0_601 Depth=2
	v_bfe_u32 v3, v2, 21, 1
	v_add_co_u32_e64 v3, s[18:19], v2, v3
	v_add_co_u32_e64 v3, s[18:19], -1, v3
; %bb.1050:                             ;   in Loop: Header=BB0_601 Depth=2
	s_or_b64 exec, exec, s[88:89]
	v_add_u32_e32 v4, 0xffffff81, v17
	v_cndmask_b32_e32 v4, v4, v48, vcc
	v_lshrrev_b32_e32 v17, 23, v2
	v_add3_u32 v18, v18, v4, v17
	v_add_u32_e32 v17, 14, v18
	v_and_b32_e32 v3, 0x1fffff, v3
	v_add_u32_e32 v58, v3, v2
	v_cmp_ne_u32_e32 vcc, 0, v17
                                        ; implicit-def: $vgpr2_vgpr3
                                        ; implicit-def: $vgpr4
	s_and_saveexec_b64 s[18:19], vcc
	s_xor_b64 s[18:19], exec, s[18:19]
; %bb.1051:                             ;   in Loop: Header=BB0_601 Depth=2
	v_cmp_lt_u64_e32 vcc, s[62:63], v[58:59]
	v_add_u32_e32 v2, 15, v18
	v_cndmask_b32_e32 v4, v17, v2, vcc
	v_cndmask_b32_e64 v2, 0, 1, vcc
	v_lshrrev_b64 v[2:3], v2, v[58:59]
; %bb.1052:                             ;   in Loop: Header=BB0_601 Depth=2
	s_andn2_saveexec_b64 s[18:19], s[18:19]
; %bb.1053:                             ;   in Loop: Header=BB0_601 Depth=2
	v_mov_b32_e32 v2, v58
	v_bfe_u32 v4, v58, 23, 1
	v_mov_b32_e32 v3, v59
; %bb.1054:                             ;   in Loop: Header=BB0_601 Depth=2
	s_or_b64 exec, exec, s[18:19]
	v_lshrrev_b64 v[2:3], 21, v[2:3]
	v_cmp_gt_i32_e32 vcc, 32, v4
	v_cndmask_b32_e32 v3, 0, v3, vcc
	v_cndmask_b32_e32 v2, 3, v2, vcc
	v_cmp_eq_u64_e64 s[18:19], 0, v[2:3]
	v_min_i32_e32 v3, 31, v4
	v_lshlrev_b32_e32 v3, 2, v3
	v_cmp_eq_u32_e32 vcc, 0, v4
	v_and_b32_e32 v3, 0xfc, v3
	v_and_or_b32 v2, v2, 3, v3
	s_and_b64 s[18:19], vcc, s[18:19]
	v_cndmask_b32_e64 v2, v2, 0, s[18:19]
	v_or_b32_e32 v3, v2, v0
.LBB0_1055:                             ;   in Loop: Header=BB0_601 Depth=2
	s_or_b64 exec, exec, s[78:79]
                                        ; implicit-def: $vgpr0
.LBB0_1056:                             ;   in Loop: Header=BB0_601 Depth=2
	s_andn2_saveexec_b64 s[18:19], s[76:77]
; %bb.1057:                             ;   in Loop: Header=BB0_601 Depth=2
	v_or_b32_e32 v3, 0x7b, v0
; %bb.1058:                             ;   in Loop: Header=BB0_601 Depth=2
	s_or_b64 exec, exec, s[18:19]
                                        ; implicit-def: $vgpr2
.LBB0_1059:                             ;   in Loop: Header=BB0_601 Depth=2
	s_andn2_saveexec_b64 s[18:19], s[74:75]
	s_cbranch_execz .LBB0_1065
; %bb.1060:                             ;   in Loop: Header=BB0_601 Depth=2
	v_cmp_ne_u64_e32 vcc, 0, v[58:59]
                                        ; implicit-def: $vgpr3
	s_and_saveexec_b64 s[74:75], vcc
	s_xor_b64 s[74:75], exec, s[74:75]
; %bb.1061:                             ;   in Loop: Header=BB0_601 Depth=2
	v_or_b32_sdwa v3, v2, s52 dst_sel:DWORD dst_unused:UNUSED_PAD src0_sel:BYTE_3 src1_sel:DWORD
                                        ; implicit-def: $vgpr2
; %bb.1062:                             ;   in Loop: Header=BB0_601 Depth=2
	s_andn2_saveexec_b64 s[74:75], s[74:75]
; %bb.1063:                             ;   in Loop: Header=BB0_601 Depth=2
	v_cmp_lt_i32_e32 vcc, -1, v2
	v_cndmask_b32_e32 v3, v49, v31, vcc
; %bb.1064:                             ;   in Loop: Header=BB0_601 Depth=2
	s_or_b64 exec, exec, s[74:75]
.LBB0_1065:                             ;   in Loop: Header=BB0_601 Depth=2
	s_or_b64 exec, exec, s[18:19]
	v_lshlrev_b32_e32 v0, 16, v23
	v_lshlrev_b32_e32 v2, 24, v36
	v_lshl_or_b32 v0, v32, 8, v0
	v_or3_b32 v17, v0, v2, v10
	v_lshlrev_b32_e32 v2, 16, v33
	v_lshlrev_b32_e32 v0, 24, v3
	v_lshl_or_b32 v2, v24, 8, v2
	v_cmp_lt_u32_e32 vcc, 7, v42
	v_or3_b32 v18, v2, v0, v20
	s_cmp_lg_u64 vcc, exec
	s_mov_b64 s[18:19], -1
	s_cbranch_scc0 .LBB0_1075
; %bb.1066:                             ;   in Loop: Header=BB0_601 Depth=2
	v_cmp_ne_u32_e64 s[18:19], 1, v42
	flat_store_byte v[46:47], v10
	s_and_saveexec_b64 s[74:75], s[18:19]
	s_cbranch_execnz .LBB0_1077
; %bb.1067:                             ;   in Loop: Header=BB0_601 Depth=2
	s_or_b64 exec, exec, s[74:75]
	v_cmp_lt_u32_e64 s[18:19], 2, v42
	s_and_saveexec_b64 s[74:75], s[18:19]
	s_cbranch_execnz .LBB0_1078
.LBB0_1068:                             ;   in Loop: Header=BB0_601 Depth=2
	s_or_b64 exec, exec, s[74:75]
	v_cmp_lt_u32_e64 s[18:19], 3, v42
	s_and_saveexec_b64 s[74:75], s[18:19]
	s_cbranch_execnz .LBB0_1079
.LBB0_1069:                             ;   in Loop: Header=BB0_601 Depth=2
	s_or_b64 exec, exec, s[74:75]
	v_cmp_lt_u32_e64 s[18:19], 4, v42
	s_and_saveexec_b64 s[74:75], s[18:19]
	s_cbranch_execnz .LBB0_1080
.LBB0_1070:                             ;   in Loop: Header=BB0_601 Depth=2
	s_or_b64 exec, exec, s[74:75]
	v_cmp_lt_u32_e64 s[18:19], 5, v42
	s_and_saveexec_b64 s[74:75], s[18:19]
	s_cbranch_execnz .LBB0_1081
.LBB0_1071:                             ;   in Loop: Header=BB0_601 Depth=2
	s_or_b64 exec, exec, s[74:75]
	v_cmp_lt_u32_e64 s[18:19], 6, v42
	s_and_saveexec_b64 s[74:75], s[18:19]
	s_cbranch_execnz .LBB0_1082
.LBB0_1072:                             ;   in Loop: Header=BB0_601 Depth=2
	s_or_b64 exec, exec, s[74:75]
	s_and_saveexec_b64 s[18:19], vcc
	s_cbranch_execz .LBB0_1074
.LBB0_1073:                             ;   in Loop: Header=BB0_601 Depth=2
	v_lshrrev_b32_e32 v0, 24, v18
	flat_store_byte v[46:47], v0 offset:7
.LBB0_1074:                             ;   in Loop: Header=BB0_601 Depth=2
	s_or_b64 exec, exec, s[18:19]
	s_mov_b64 s[18:19], 0
.LBB0_1075:                             ;   in Loop: Header=BB0_601 Depth=2
	s_and_b64 vcc, exec, s[18:19]
	s_cbranch_vccz .LBB0_600
; %bb.1076:                             ;   in Loop: Header=BB0_601 Depth=2
	global_store_dwordx2 v[46:47], v[17:18], off
	s_branch .LBB0_600
.LBB0_1077:                             ;   in Loop: Header=BB0_601 Depth=2
	v_lshrrev_b32_e32 v0, 8, v17
	flat_store_byte v[46:47], v0 offset:1
	s_or_b64 exec, exec, s[74:75]
	v_cmp_lt_u32_e64 s[18:19], 2, v42
	s_and_saveexec_b64 s[74:75], s[18:19]
	s_cbranch_execz .LBB0_1068
.LBB0_1078:                             ;   in Loop: Header=BB0_601 Depth=2
	flat_store_byte_d16_hi v[46:47], v17 offset:2
	s_or_b64 exec, exec, s[74:75]
	v_cmp_lt_u32_e64 s[18:19], 3, v42
	s_and_saveexec_b64 s[74:75], s[18:19]
	s_cbranch_execz .LBB0_1069
.LBB0_1079:                             ;   in Loop: Header=BB0_601 Depth=2
	v_lshrrev_b32_e32 v0, 24, v17
	flat_store_byte v[46:47], v0 offset:3
	s_or_b64 exec, exec, s[74:75]
	v_cmp_lt_u32_e64 s[18:19], 4, v42
	s_and_saveexec_b64 s[74:75], s[18:19]
	s_cbranch_execz .LBB0_1070
.LBB0_1080:                             ;   in Loop: Header=BB0_601 Depth=2
	flat_store_byte v[46:47], v20 offset:4
	s_or_b64 exec, exec, s[74:75]
	v_cmp_lt_u32_e64 s[18:19], 5, v42
	s_and_saveexec_b64 s[74:75], s[18:19]
	s_cbranch_execz .LBB0_1071
.LBB0_1081:                             ;   in Loop: Header=BB0_601 Depth=2
	v_lshrrev_b32_e32 v0, 8, v18
	flat_store_byte v[46:47], v0 offset:5
	s_or_b64 exec, exec, s[74:75]
	v_cmp_lt_u32_e64 s[18:19], 6, v42
	s_and_saveexec_b64 s[74:75], s[18:19]
	s_cbranch_execz .LBB0_1072
.LBB0_1082:                             ;   in Loop: Header=BB0_601 Depth=2
	flat_store_byte_d16_hi v[46:47], v18 offset:6
	s_or_b64 exec, exec, s[74:75]
	s_and_saveexec_b64 s[18:19], vcc
	s_cbranch_execnz .LBB0_1073
	s_branch .LBB0_1074
.LBB0_1083:                             ;   in Loop: Header=BB0_21 Depth=1
	s_or_b64 exec, exec, s[72:73]
.LBB0_1084:                             ;   in Loop: Header=BB0_21 Depth=1
	s_or_b64 exec, exec, s[20:21]
	buffer_load_dword v36, off, s[0:3], s32 offset:164 ; 4-byte Folded Reload
	buffer_load_dword v37, off, s[0:3], s32 offset:168 ; 4-byte Folded Reload
	;; [unrolled: 1-line block ×11, first 2 shown]
	s_and_saveexec_b64 s[18:19], s[10:11]
	s_cbranch_execz .LBB0_1103
; %bb.1085:                             ;   in Loop: Header=BB0_21 Depth=1
	s_and_saveexec_b64 s[20:21], s[42:43]
	s_xor_b64 s[20:21], exec, s[20:21]
	s_cbranch_execz .LBB0_1100
; %bb.1086:                             ;   in Loop: Header=BB0_21 Depth=1
	s_and_saveexec_b64 s[72:73], s[12:13]
	s_cbranch_execz .LBB0_1099
; %bb.1087:                             ;   in Loop: Header=BB0_21 Depth=1
	s_mov_b64 s[76:77], exec
	s_waitcnt lgkmcnt(0)
	v_mbcnt_lo_u32_b32 v0, s76, 0
	v_mbcnt_hi_u32_b32 v0, s77, v0
	v_cmp_eq_u32_e32 vcc, 0, v0
	s_waitcnt vmcnt(0)
	buffer_wbinvl1_vol
	s_and_saveexec_b64 s[74:75], vcc
	s_cbranch_execz .LBB0_1089
; %bb.1088:                             ;   in Loop: Header=BB0_21 Depth=1
	s_bcnt1_i32_b64 s28, s[76:77]
	v_mov_b32_e32 v58, s28
	ds_add_u64 v0, v[58:59]
	s_trap 2
.LBB0_1089:                             ;   in Loop: Header=BB0_21 Depth=1
	s_or_b64 exec, exec, s[74:75]
	s_trap 2
	ds_read_b64 v[2:3], v0
	s_waitcnt lgkmcnt(0)
	buffer_load_dword v0, off, s[0:3], s32 offset:128 ; 4-byte Folded Reload
	s_waitcnt vmcnt(0)
	v_add_co_u32_e32 v40, vcc, v40, v0
	v_addc_co_u32_e32 v41, vcc, 0, v41, vcc
	v_cmp_lt_u64_e32 vcc, v[2:3], v[40:41]
	s_and_saveexec_b64 s[74:75], vcc
	s_cbranch_execz .LBB0_1098
; %bb.1090:                             ;   in Loop: Header=BB0_21 Depth=1
	s_mov_b32 s28, 0
	s_mov_b64 s[76:77], 0
                                        ; implicit-def: $sgpr78_sgpr79
                                        ; implicit-def: $sgpr88_sgpr89
	s_branch .LBB0_1092
.LBB0_1091:                             ;   in Loop: Header=BB0_1092 Depth=2
	s_or_b64 exec, exec, s[92:93]
	s_and_b64 s[90:91], exec, s[94:95]
	s_or_b64 s[76:77], s[90:91], s[76:77]
	s_andn2_b64 s[78:79], s[78:79], exec
	s_and_b64 s[90:91], s[88:89], exec
	s_or_b64 s[78:79], s[78:79], s[90:91]
	s_andn2_b64 exec, exec, s[76:77]
	s_cbranch_execz .LBB0_1096
.LBB0_1092:                             ;   Parent Loop BB0_21 Depth=1
                                        ; =>  This Inner Loop Header: Depth=2
	s_add_i32 s28, s28, 1
	s_cmpk_lg_i32 s28, 0x2710
	s_cselect_b64 s[90:91], -1, 0
	s_and_b64 vcc, exec, s[90:91]
	s_cbranch_vccz .LBB0_1094
; %bb.1093:                             ;   in Loop: Header=BB0_1092 Depth=2
	s_mov_b64 s[94:95], -1
	s_or_b64 s[88:89], s[88:89], exec
	s_and_saveexec_b64 s[92:93], s[90:91]
	s_cbranch_execz .LBB0_1091
	s_branch .LBB0_1095
.LBB0_1094:                             ;   in Loop: Header=BB0_1092 Depth=2
	s_trap 2
	ds_read_b64 v[2:3], v0
	s_andn2_b64 s[90:91], s[90:91], exec
	s_mov_b32 s28, 0
	s_waitcnt lgkmcnt(0)
	flat_load_dword v0, v[2:3] glc
	s_waitcnt vmcnt(0) lgkmcnt(0)
	buffer_wbinvl1_vol
	v_cmp_eq_u32_e32 vcc, 0, v0
	s_and_b64 s[92:93], vcc, exec
	s_or_b64 s[90:91], s[90:91], s[92:93]
	s_mov_b64 s[94:95], -1
	s_or_b64 s[88:89], s[88:89], exec
	s_and_saveexec_b64 s[92:93], s[90:91]
	s_cbranch_execz .LBB0_1091
.LBB0_1095:                             ;   in Loop: Header=BB0_1092 Depth=2
	s_sleep 1
	s_trap 2
	ds_read_b64 v[2:3], v0
	s_waitcnt lgkmcnt(0)
	s_andn2_b64 s[88:89], s[88:89], exec
	v_cmp_ge_u64_e32 vcc, v[2:3], v[40:41]
	s_orn2_b64 s[94:95], vcc, exec
	s_branch .LBB0_1091
.LBB0_1096:                             ;   in Loop: Header=BB0_21 Depth=1
	s_or_b64 exec, exec, s[76:77]
	s_and_saveexec_b64 s[76:77], s[78:79]
	s_xor_b64 s[76:77], exec, s[76:77]
	s_cbranch_execz .LBB0_1098
; %bb.1097:                             ;   in Loop: Header=BB0_21 Depth=1
	v_mov_b32_e32 v0, 1
	ds_write_b32 v0, v0
	s_trap 2
.LBB0_1098:                             ;   in Loop: Header=BB0_21 Depth=1
	s_or_b64 exec, exec, s[74:75]
	;;#ASMSTART
	s_wakeup
	;;#ASMEND
.LBB0_1099:                             ;   in Loop: Header=BB0_21 Depth=1
	s_or_b64 exec, exec, s[72:73]
.LBB0_1100:                             ;   in Loop: Header=BB0_21 Depth=1
	s_andn2_saveexec_b64 s[20:21], s[20:21]
	s_cbranch_execz .LBB0_1102
; %bb.1101:                             ;   in Loop: Header=BB0_21 Depth=1
	s_waitcnt vmcnt(0) lgkmcnt(0)
	buffer_wbinvl1_vol
	s_barrier
.LBB0_1102:                             ;   in Loop: Header=BB0_21 Depth=1
	s_or_b64 exec, exec, s[20:21]
.LBB0_1103:                             ;   in Loop: Header=BB0_21 Depth=1
	s_or_b64 exec, exec, s[18:19]
	s_and_saveexec_b64 s[18:19], s[16:17]
	s_cbranch_execz .LBB0_20
; %bb.1104:                             ;   in Loop: Header=BB0_21 Depth=1
	buffer_load_dword v2, off, s[0:3], s32 offset:92 ; 4-byte Folded Reload
	buffer_load_dword v3, off, s[0:3], s32 offset:96 ; 4-byte Folded Reload
	v_add_co_u32_e32 v60, vcc, 1, v60
	v_addc_co_u32_e32 v61, vcc, 0, v61, vcc
	s_waitcnt vmcnt(0)
	flat_store_dwordx2 v[2:3], v[60:61]
	s_branch .LBB0_20
.LBB0_1105:
	s_or_b64 exec, exec, s[40:41]
	buffer_load_dword v31, off, s[0:3], s32 offset:244 ; 4-byte Folded Reload
	buffer_load_dword v12, off, s[0:3], s32 offset:248 ; 4-byte Folded Reload
	buffer_load_dword v23, off, s[0:3], s32 offset:252 ; 4-byte Folded Reload
	buffer_load_dword v24, off, s[0:3], s32 offset:256 ; 4-byte Folded Reload
	buffer_load_dword v25, off, s[0:3], s32 offset:260 ; 4-byte Folded Reload
	buffer_load_dword v26, off, s[0:3], s32 offset:264 ; 4-byte Folded Reload
.LBB0_1106:
	s_or_b64 exec, exec, s[26:27]
; %bb.1107:
	s_and_saveexec_b64 s[6:7], s[24:25]
	s_cbranch_execnz .LBB0_1110
; %bb.1108:
	s_or_b64 exec, exec, s[6:7]
	s_and_saveexec_b64 s[6:7], s[4:5]
	s_cbranch_execnz .LBB0_1111
.LBB0_1109:
	s_or_b64 exec, exec, s[6:7]
	v_cmp_ne_u32_e32 vcc, 64, v1
	s_and_saveexec_b64 s[4:5], vcc
	s_cbranch_execnz .LBB0_1112
	s_branch .LBB0_1129
.LBB0_1110:
	s_waitcnt vmcnt(0) lgkmcnt(0)
	flat_store_dwordx2 v[25:26], v[60:61] offset:104
	s_or_b64 exec, exec, s[6:7]
	s_and_saveexec_b64 s[6:7], s[4:5]
	s_cbranch_execz .LBB0_1109
.LBB0_1111:
	s_waitcnt vmcnt(0) lgkmcnt(0)
	flat_store_dwordx2 v[23:24], v[15:16] offset:104
	s_or_b64 exec, exec, s[6:7]
	v_cmp_ne_u32_e32 vcc, 64, v1
	s_and_saveexec_b64 s[4:5], vcc
	s_cbranch_execz .LBB0_1129
.LBB0_1112:
	s_waitcnt vmcnt(0)
	v_cmp_ne_u32_sdwa s[6:7], v1, v12 src0_sel:DWORD src1_sel:WORD_0
	s_and_saveexec_b64 s[8:9], s[6:7]
	s_xor_b64 s[6:7], exec, s[8:9]
	s_cbranch_execz .LBB0_1127
; %bb.1113:
	s_waitcnt lgkmcnt(0)
	v_and_b32_e32 v0, 63, v31
	v_cmp_eq_u32_e32 vcc, 0, v0
	s_and_saveexec_b64 s[8:9], vcc
	s_cbranch_execz .LBB0_1126
; %bb.1114:
	s_mov_b64 s[12:13], exec
	v_mbcnt_lo_u32_b32 v0, s12, 0
	v_mbcnt_hi_u32_b32 v0, s13, v0
	v_cmp_eq_u32_e32 vcc, 0, v0
	buffer_wbinvl1_vol
	s_and_saveexec_b64 s[10:11], vcc
	s_cbranch_execz .LBB0_1116
; %bb.1115:
	s_bcnt1_i32_b64 s12, s[12:13]
	v_mov_b32_e32 v2, s12
	v_mov_b32_e32 v3, 0
	ds_add_u64 v0, v[2:3]
	s_trap 2
.LBB0_1116:
	s_or_b64 exec, exec, s[10:11]
	v_lshrrev_b32_e32 v0, 6, v1
	s_trap 2
	ds_read_b64 v[2:3], v0
	s_waitcnt lgkmcnt(0)
	v_add_co_u32_e32 v0, vcc, v40, v0
	v_addc_co_u32_e32 v1, vcc, 0, v41, vcc
	v_cmp_lt_u64_e32 vcc, v[2:3], v[0:1]
	s_and_saveexec_b64 s[10:11], vcc
	s_cbranch_execz .LBB0_1125
; %bb.1117:
	s_mov_b32 s24, 0
	s_mov_b64 s[12:13], 0
                                        ; implicit-def: $sgpr14_sgpr15
                                        ; implicit-def: $sgpr16_sgpr17
	s_branch .LBB0_1119
.LBB0_1118:                             ;   in Loop: Header=BB0_1119 Depth=1
	s_or_b64 exec, exec, s[20:21]
	s_and_b64 s[18:19], exec, s[22:23]
	s_or_b64 s[12:13], s[18:19], s[12:13]
	s_andn2_b64 s[14:15], s[14:15], exec
	s_and_b64 s[18:19], s[16:17], exec
	s_or_b64 s[14:15], s[14:15], s[18:19]
	s_andn2_b64 exec, exec, s[12:13]
	s_cbranch_execz .LBB0_1123
.LBB0_1119:                             ; =>This Inner Loop Header: Depth=1
	s_add_i32 s24, s24, 1
	s_cmpk_lg_i32 s24, 0x2710
	s_cselect_b64 s[18:19], -1, 0
	s_and_b64 vcc, exec, s[18:19]
	s_cbranch_vccz .LBB0_1121
; %bb.1120:                             ;   in Loop: Header=BB0_1119 Depth=1
	s_mov_b64 s[22:23], -1
	s_or_b64 s[16:17], s[16:17], exec
	s_and_saveexec_b64 s[20:21], s[18:19]
	s_cbranch_execz .LBB0_1118
	s_branch .LBB0_1122
.LBB0_1121:                             ;   in Loop: Header=BB0_1119 Depth=1
	s_trap 2
	ds_read_b64 v[2:3], v0
	s_andn2_b64 s[18:19], s[18:19], exec
	s_mov_b32 s24, 0
	s_waitcnt lgkmcnt(0)
	flat_load_dword v2, v[2:3] glc
	s_waitcnt vmcnt(0) lgkmcnt(0)
	buffer_wbinvl1_vol
	v_cmp_eq_u32_e32 vcc, 0, v2
	s_and_b64 s[20:21], vcc, exec
	s_or_b64 s[18:19], s[18:19], s[20:21]
	s_mov_b64 s[22:23], -1
	s_or_b64 s[16:17], s[16:17], exec
	s_and_saveexec_b64 s[20:21], s[18:19]
	s_cbranch_execz .LBB0_1118
.LBB0_1122:                             ;   in Loop: Header=BB0_1119 Depth=1
	s_sleep 1
	s_trap 2
	ds_read_b64 v[2:3], v0
	s_waitcnt lgkmcnt(0)
	s_andn2_b64 s[16:17], s[16:17], exec
	v_cmp_ge_u64_e32 vcc, v[2:3], v[0:1]
	s_orn2_b64 s[22:23], vcc, exec
	s_branch .LBB0_1118
.LBB0_1123:
	s_or_b64 exec, exec, s[12:13]
	s_and_saveexec_b64 s[12:13], s[14:15]
	s_xor_b64 s[12:13], exec, s[12:13]
	s_cbranch_execz .LBB0_1125
; %bb.1124:
	v_mov_b32_e32 v0, 1
	ds_write_b32 v0, v0
	s_trap 2
.LBB0_1125:
	s_or_b64 exec, exec, s[10:11]
	;;#ASMSTART
	s_wakeup
	;;#ASMEND
.LBB0_1126:
	s_or_b64 exec, exec, s[8:9]
.LBB0_1127:
	s_andn2_saveexec_b64 s[6:7], s[6:7]
	s_cbranch_execz .LBB0_1129
; %bb.1128:
	s_waitcnt lgkmcnt(0)
	buffer_wbinvl1_vol
	s_barrier
.LBB0_1129:
	s_or_b64 exec, exec, s[4:5]
	buffer_load_dword v62, off, s[0:3], s32 ; 4-byte Folded Reload
	s_waitcnt lgkmcnt(0)
	buffer_load_dword v61, off, s[0:3], s32 offset:4 ; 4-byte Folded Reload
	buffer_load_dword v60, off, s[0:3], s32 offset:8 ; 4-byte Folded Reload
	;; [unrolled: 1-line block ×14, first 2 shown]
	v_readlane_b32 s30, v63, 14
	v_readlane_b32 s31, v63, 15
	;; [unrolled: 1-line block ×16, first 2 shown]
	s_or_saveexec_b64 s[4:5], -1
	buffer_load_dword v63, off, s[0:3], s32 offset:268 ; 4-byte Folded Reload
	s_mov_b64 exec, s[4:5]
	s_waitcnt vmcnt(0)
	s_setpc_b64 s[30:31]
.Lfunc_end0:
	.size	_ZN12_GLOBAL__N_17runRingI14__hip_fp8_e5m210FuncMinMaxIS1_E7ProtoLLLi0ELi1ELi0EEEviiP15ncclDevWorkColl, .Lfunc_end0-_ZN12_GLOBAL__N_17runRingI14__hip_fp8_e5m210FuncMinMaxIS1_E7ProtoLLLi0ELi1ELi0EEEviiP15ncclDevWorkColl
                                        ; -- End function
	.set .L_ZN12_GLOBAL__N_17runRingI14__hip_fp8_e5m210FuncMinMaxIS1_E7ProtoLLLi0ELi1ELi0EEEviiP15ncclDevWorkColl.num_vgpr, 64
	.set .L_ZN12_GLOBAL__N_17runRingI14__hip_fp8_e5m210FuncMinMaxIS1_E7ProtoLLLi0ELi1ELi0EEEviiP15ncclDevWorkColl.num_agpr, 0
	.set .L_ZN12_GLOBAL__N_17runRingI14__hip_fp8_e5m210FuncMinMaxIS1_E7ProtoLLLi0ELi1ELi0EEEviiP15ncclDevWorkColl.numbered_sgpr, 96
	.set .L_ZN12_GLOBAL__N_17runRingI14__hip_fp8_e5m210FuncMinMaxIS1_E7ProtoLLLi0ELi1ELi0EEEviiP15ncclDevWorkColl.num_named_barrier, 0
	.set .L_ZN12_GLOBAL__N_17runRingI14__hip_fp8_e5m210FuncMinMaxIS1_E7ProtoLLLi0ELi1ELi0EEEviiP15ncclDevWorkColl.private_seg_size, 276
	.set .L_ZN12_GLOBAL__N_17runRingI14__hip_fp8_e5m210FuncMinMaxIS1_E7ProtoLLLi0ELi1ELi0EEEviiP15ncclDevWorkColl.uses_vcc, 1
	.set .L_ZN12_GLOBAL__N_17runRingI14__hip_fp8_e5m210FuncMinMaxIS1_E7ProtoLLLi0ELi1ELi0EEEviiP15ncclDevWorkColl.uses_flat_scratch, 0
	.set .L_ZN12_GLOBAL__N_17runRingI14__hip_fp8_e5m210FuncMinMaxIS1_E7ProtoLLLi0ELi1ELi0EEEviiP15ncclDevWorkColl.has_dyn_sized_stack, 0
	.set .L_ZN12_GLOBAL__N_17runRingI14__hip_fp8_e5m210FuncMinMaxIS1_E7ProtoLLLi0ELi1ELi0EEEviiP15ncclDevWorkColl.has_recursion, 0
	.set .L_ZN12_GLOBAL__N_17runRingI14__hip_fp8_e5m210FuncMinMaxIS1_E7ProtoLLLi0ELi1ELi0EEEviiP15ncclDevWorkColl.has_indirect_call, 0
	.section	.AMDGPU.csdata,"",@progbits
; Function info:
; codeLenInByte = 29728
; TotalNumSgprs: 100
; NumVgprs: 64
; ScratchSize: 276
; MemoryBound: 0
	.text
	.p2align	2                               ; -- Begin function _Z53ncclDevFunc_ReduceScatter_RING_LL_MinMax_f8e5m2_0_0_1v
	.type	_Z53ncclDevFunc_ReduceScatter_RING_LL_MinMax_f8e5m2_0_0_1v,@function
_Z53ncclDevFunc_ReduceScatter_RING_LL_MinMax_f8e5m2_0_0_1v: ; @_Z53ncclDevFunc_ReduceScatter_RING_LL_MinMax_f8e5m2_0_0_1v
; %bb.0:
	s_waitcnt vmcnt(0) expcnt(0) lgkmcnt(0)
	s_mov_b32 s4, s33
	s_mov_b32 s33, s32
	s_or_saveexec_b64 s[6:7], -1
	buffer_store_dword v43, off, s[0:3], s33 offset:16 ; 4-byte Folded Spill
	s_mov_b64 exec, s[6:7]
	v_writelane_b32 v43, s4, 22
	s_addk_i32 s32, 0x800
	buffer_store_dword v40, off, s[0:3], s33 offset:12 ; 4-byte Folded Spill
	buffer_store_dword v41, off, s[0:3], s33 offset:8 ; 4-byte Folded Spill
	;; [unrolled: 1-line block ×3, first 2 shown]
	buffer_store_dword v63, off, s[0:3], s33 ; 4-byte Folded Spill
	v_writelane_b32 v43, s34, 0
	v_writelane_b32 v43, s35, 1
	;; [unrolled: 1-line block ×22, first 2 shown]
	s_trap 2
	ds_read_b32 v0, v0
	v_mov_b32_e32 v40, v31
	v_and_b32_e32 v41, 0x3ff, v40
	s_mov_b32 s66, s12
	s_mov_b64 s[64:65], s[8:9]
	s_waitcnt lgkmcnt(0)
	v_cmp_lt_i32_e32 vcc, v41, v0
	s_and_saveexec_b64 s[4:5], vcc
	s_cbranch_execz .LBB1_5
; %bb.1:
	s_load_dword s6, s[64:65], 0x0
	v_mov_b32_e32 v1, 0
	s_mov_b32 s10, 0
	v_mov_b32_e32 v4, v41
                                        ; implicit-def: $vgpr3
	s_waitcnt lgkmcnt(0)
	s_cmp_lt_u32 s66, s6
	s_cselect_b32 s6, 12, 18
	s_add_u32 s6, s64, s6
	s_addc_u32 s7, s65, 0
	global_load_ushort v1, v1, s[6:7]
	s_trap 2
	ds_read_b32 v2, v0
	s_mov_b64 s[6:7], 0
	s_waitcnt vmcnt(0) lgkmcnt(0)
	v_mul_lo_u32 v2, v2, v1
	s_branch .LBB1_3
.LBB1_2:                                ;   in Loop: Header=BB1_3 Depth=1
	s_or_b64 exec, exec, s[8:9]
	v_add_u32_e32 v4, v4, v1
	v_cmp_ge_i32_e32 vcc, v4, v0
	s_or_b64 s[6:7], vcc, s[6:7]
	v_add_u32_e32 v3, v3, v2
	s_andn2_b64 exec, exec, s[6:7]
	s_cbranch_execz .LBB1_5
.LBB1_3:                                ; =>This Inner Loop Header: Depth=1
	ds_read_b32 v5, v3
	s_waitcnt lgkmcnt(0)
	v_and_b32_e32 v5, 0x1000000, v5
	v_cmp_ne_u32_e32 vcc, 0, v5
	s_and_saveexec_b64 s[8:9], vcc
	s_cbranch_execz .LBB1_2
; %bb.4:                                ;   in Loop: Header=BB1_3 Depth=1
	ds_read_b64 v[5:6], v3 offset:104
	s_waitcnt lgkmcnt(0)
	flat_load_ubyte v5, v[5:6]
	v_mov_b32_e32 v6, s10
	s_waitcnt vmcnt(0) lgkmcnt(0)
	v_and_b32_e32 v5, 0xffff, v5
	ds_write_b64 v3, v[5:6] offset:104
	s_branch .LBB1_2
.LBB1_5:
	s_or_b64 exec, exec, s[4:5]
	s_waitcnt vmcnt(0) lgkmcnt(0)
	s_barrier
	s_trap 2
	ds_read_b32 v0, v0
	s_waitcnt lgkmcnt(0)
	v_cmp_gt_i32_e32 vcc, 1, v0
	s_cbranch_vccnz .LBB1_13
; %bb.6:
	s_mov_b32 s67, 0
	v_mov_b32_e32 v42, 6
	s_branch .LBB1_8
.LBB1_7:                                ;   in Loop: Header=BB1_8 Depth=1
	s_or_b64 exec, exec, s[68:69]
	s_trap 2
	ds_read_b32 v0, v0
	s_add_i32 s67, s67, 1
	s_waitcnt lgkmcnt(0)
	v_cmp_lt_i32_e32 vcc, s67, v0
	s_cbranch_vccz .LBB1_13
.LBB1_8:                                ; =>This Inner Loop Header: Depth=1
	s_trap 2
	ds_read_b32 v0, v0
	s_cmp_eq_u32 s67, 0
	s_cbranch_scc1 .LBB1_11
; %bb.9:                                ;   in Loop: Header=BB1_8 Depth=1
	s_trap 2
	s_waitcnt lgkmcnt(0)
	ds_read_b32 v1, v0
	s_waitcnt lgkmcnt(0)
	v_xor_b32_e32 v1, v1, v0
	v_and_b32_e32 v1, 0xff0000, v1
	v_cmp_eq_u32_e32 vcc, 0, v1
	s_cbranch_vccnz .LBB1_11
; %bb.10:                               ;   in Loop: Header=BB1_8 Depth=1
	s_barrier
	ds_read_b32 v0, v0
.LBB1_11:                               ;   in Loop: Header=BB1_8 Depth=1
	s_waitcnt lgkmcnt(0)
	v_lshlrev_b32_sdwa v1, v42, v0 dst_sel:DWORD dst_unused:UNUSED_PAD src0_sel:DWORD src1_sel:BYTE_2
	v_cmp_lt_u32_e32 vcc, v41, v1
	s_and_saveexec_b64 s[68:69], vcc
	s_cbranch_execz .LBB1_7
; %bb.12:                               ;   in Loop: Header=BB1_8 Depth=1
	s_mov_b64 s[4:5], src_shared_base
	s_getpc_b64 s[6:7]
	s_add_u32 s6, s6, _ZN12_GLOBAL__N_17runRingI14__hip_fp8_e5m210FuncMinMaxIS1_E7ProtoLLLi0ELi1ELi0EEEviiP15ncclDevWorkColl@rel32@lo+4
	s_addc_u32 s7, s7, _ZN12_GLOBAL__N_17runRingI14__hip_fp8_e5m210FuncMinMaxIS1_E7ProtoLLLi0ELi1ELi0EEEviiP15ncclDevWorkColl@rel32@hi+12
	s_mov_b64 s[8:9], s[64:65]
	s_mov_b32 s12, s66
	v_mov_b32_e32 v31, v40
	v_mov_b32_e32 v0, v41
	;; [unrolled: 1-line block ×3, first 2 shown]
	s_swappc_b64 s[30:31], s[6:7]
	s_branch .LBB1_7
.LBB1_13:
	buffer_load_dword v63, off, s[0:3], s33 ; 4-byte Folded Reload
	buffer_load_dword v42, off, s[0:3], s33 offset:4 ; 4-byte Folded Reload
	buffer_load_dword v41, off, s[0:3], s33 offset:8 ; 4-byte Folded Reload
	;; [unrolled: 1-line block ×3, first 2 shown]
	v_readlane_b32 s30, v43, 20
	v_readlane_b32 s31, v43, 21
	;; [unrolled: 1-line block ×22, first 2 shown]
	s_mov_b32 s32, s33
	v_readlane_b32 s4, v43, 22
	s_or_saveexec_b64 s[6:7], -1
	buffer_load_dword v43, off, s[0:3], s33 offset:16 ; 4-byte Folded Reload
	s_mov_b64 exec, s[6:7]
	s_mov_b32 s33, s4
	s_waitcnt vmcnt(0)
	s_setpc_b64 s[30:31]
.Lfunc_end1:
	.size	_Z53ncclDevFunc_ReduceScatter_RING_LL_MinMax_f8e5m2_0_0_1v, .Lfunc_end1-_Z53ncclDevFunc_ReduceScatter_RING_LL_MinMax_f8e5m2_0_0_1v
                                        ; -- End function
	.set .L_Z53ncclDevFunc_ReduceScatter_RING_LL_MinMax_f8e5m2_0_0_1v.num_vgpr, max(64, .L_ZN12_GLOBAL__N_17runRingI14__hip_fp8_e5m210FuncMinMaxIS1_E7ProtoLLLi0ELi1ELi0EEEviiP15ncclDevWorkColl.num_vgpr)
	.set .L_Z53ncclDevFunc_ReduceScatter_RING_LL_MinMax_f8e5m2_0_0_1v.num_agpr, max(0, .L_ZN12_GLOBAL__N_17runRingI14__hip_fp8_e5m210FuncMinMaxIS1_E7ProtoLLLi0ELi1ELi0EEEviiP15ncclDevWorkColl.num_agpr)
	.set .L_Z53ncclDevFunc_ReduceScatter_RING_LL_MinMax_f8e5m2_0_0_1v.numbered_sgpr, max(70, .L_ZN12_GLOBAL__N_17runRingI14__hip_fp8_e5m210FuncMinMaxIS1_E7ProtoLLLi0ELi1ELi0EEEviiP15ncclDevWorkColl.numbered_sgpr)
	.set .L_Z53ncclDevFunc_ReduceScatter_RING_LL_MinMax_f8e5m2_0_0_1v.num_named_barrier, max(0, .L_ZN12_GLOBAL__N_17runRingI14__hip_fp8_e5m210FuncMinMaxIS1_E7ProtoLLLi0ELi1ELi0EEEviiP15ncclDevWorkColl.num_named_barrier)
	.set .L_Z53ncclDevFunc_ReduceScatter_RING_LL_MinMax_f8e5m2_0_0_1v.private_seg_size, 32+max(.L_ZN12_GLOBAL__N_17runRingI14__hip_fp8_e5m210FuncMinMaxIS1_E7ProtoLLLi0ELi1ELi0EEEviiP15ncclDevWorkColl.private_seg_size)
	.set .L_Z53ncclDevFunc_ReduceScatter_RING_LL_MinMax_f8e5m2_0_0_1v.uses_vcc, or(1, .L_ZN12_GLOBAL__N_17runRingI14__hip_fp8_e5m210FuncMinMaxIS1_E7ProtoLLLi0ELi1ELi0EEEviiP15ncclDevWorkColl.uses_vcc)
	.set .L_Z53ncclDevFunc_ReduceScatter_RING_LL_MinMax_f8e5m2_0_0_1v.uses_flat_scratch, or(0, .L_ZN12_GLOBAL__N_17runRingI14__hip_fp8_e5m210FuncMinMaxIS1_E7ProtoLLLi0ELi1ELi0EEEviiP15ncclDevWorkColl.uses_flat_scratch)
	.set .L_Z53ncclDevFunc_ReduceScatter_RING_LL_MinMax_f8e5m2_0_0_1v.has_dyn_sized_stack, or(0, .L_ZN12_GLOBAL__N_17runRingI14__hip_fp8_e5m210FuncMinMaxIS1_E7ProtoLLLi0ELi1ELi0EEEviiP15ncclDevWorkColl.has_dyn_sized_stack)
	.set .L_Z53ncclDevFunc_ReduceScatter_RING_LL_MinMax_f8e5m2_0_0_1v.has_recursion, or(1, .L_ZN12_GLOBAL__N_17runRingI14__hip_fp8_e5m210FuncMinMaxIS1_E7ProtoLLLi0ELi1ELi0EEEviiP15ncclDevWorkColl.has_recursion)
	.set .L_Z53ncclDevFunc_ReduceScatter_RING_LL_MinMax_f8e5m2_0_0_1v.has_indirect_call, or(0, .L_ZN12_GLOBAL__N_17runRingI14__hip_fp8_e5m210FuncMinMaxIS1_E7ProtoLLLi0ELi1ELi0EEEviiP15ncclDevWorkColl.has_indirect_call)
	.section	.AMDGPU.csdata,"",@progbits
; Function info:
; codeLenInByte = 960
; TotalNumSgprs: 100
; NumVgprs: 64
; ScratchSize: 308
; MemoryBound: 0
	.text
	.p2align	2                               ; -- Begin function _ZN12_GLOBAL__N_17runRingI14__hip_fp8_e5m210FuncMinMaxIS1_E7ProtoLLLi0ELi2ELi0EEEviiP15ncclDevWorkColl
	.type	_ZN12_GLOBAL__N_17runRingI14__hip_fp8_e5m210FuncMinMaxIS1_E7ProtoLLLi0ELi2ELi0EEEviiP15ncclDevWorkColl,@function
_ZN12_GLOBAL__N_17runRingI14__hip_fp8_e5m210FuncMinMaxIS1_E7ProtoLLLi0ELi2ELi0EEEviiP15ncclDevWorkColl: ; @_ZN12_GLOBAL__N_17runRingI14__hip_fp8_e5m210FuncMinMaxIS1_E7ProtoLLLi0ELi2ELi0EEEviiP15ncclDevWorkColl
; %bb.0:
	s_waitcnt vmcnt(0) expcnt(0) lgkmcnt(0)
	s_or_saveexec_b64 s[4:5], -1
	buffer_store_dword v63, off, s[0:3], s32 offset:268 ; 4-byte Folded Spill
	s_mov_b64 exec, s[4:5]
	buffer_store_dword v40, off, s[0:3], s32 offset:56 ; 4-byte Folded Spill
	buffer_store_dword v41, off, s[0:3], s32 offset:52 ; 4-byte Folded Spill
	buffer_store_dword v42, off, s[0:3], s32 offset:48 ; 4-byte Folded Spill
	buffer_store_dword v43, off, s[0:3], s32 offset:44 ; 4-byte Folded Spill
	buffer_store_dword v44, off, s[0:3], s32 offset:40 ; 4-byte Folded Spill
	buffer_store_dword v45, off, s[0:3], s32 offset:36 ; 4-byte Folded Spill
	buffer_store_dword v46, off, s[0:3], s32 offset:32 ; 4-byte Folded Spill
	buffer_store_dword v47, off, s[0:3], s32 offset:28 ; 4-byte Folded Spill
	buffer_store_dword v56, off, s[0:3], s32 offset:24 ; 4-byte Folded Spill
	buffer_store_dword v57, off, s[0:3], s32 offset:20 ; 4-byte Folded Spill
	buffer_store_dword v58, off, s[0:3], s32 offset:16 ; 4-byte Folded Spill
	buffer_store_dword v59, off, s[0:3], s32 offset:12 ; 4-byte Folded Spill
	buffer_store_dword v60, off, s[0:3], s32 offset:8 ; 4-byte Folded Spill
	buffer_store_dword v61, off, s[0:3], s32 offset:4 ; 4-byte Folded Spill
	buffer_store_dword v62, off, s[0:3], s32 ; 4-byte Folded Spill
	v_writelane_b32 v63, s34, 0
	v_writelane_b32 v63, s35, 1
	;; [unrolled: 1-line block ×16, first 2 shown]
	s_trap 2
	flat_load_dword v6, v[2:3]
	flat_load_dwordx4 v[36:39], v[2:3] offset:72
	flat_load_dwordx2 v[17:18], v[2:3] offset:88
	v_mov_b32_e32 v11, v0
	ds_read_b32 v4, v0
	s_waitcnt lgkmcnt(0)
	v_readfirstlane_b32 s22, v4
	s_waitcnt vmcnt(0)
	v_not_b32_sdwa v5, v6 dst_sel:DWORD dst_unused:UNUSED_PAD src0_sel:BYTE_0
	v_add_u32_sdwa v0, v6, v5 dst_sel:DWORD dst_unused:UNUSED_PAD src0_sel:BYTE_1 src1_sel:DWORD
	v_ashrrev_i32_e32 v7, 31, v0
	v_mul_lo_u32 v8, v39, v0
	v_mad_u64_u32 v[19:20], s[4:5], v38, v0, 0
	v_mul_lo_u32 v0, v38, v7
	v_cmp_ne_u32_sdwa s[4:5], v4, v6 src0_sel:DWORD src1_sel:BYTE_0
	ds_read_b64 v[44:45], v0
	v_add3_u32 v0, v20, v0, v8
                                        ; implicit-def: $vgpr20_vgpr21
                                        ; implicit-def: $vgpr7_vgpr8
                                        ; kill: killed $vgpr7_vgpr8
	s_and_saveexec_b64 s[6:7], s[4:5]
	s_xor_b64 s[4:5], exec, s[6:7]
	s_cbranch_execz .LBB2_6
; %bb.1:
	v_cmp_ne_u32_sdwa s[6:7], v4, v6 src0_sel:DWORD src1_sel:BYTE_1
                                        ; implicit-def: $vgpr20_vgpr21
                                        ; implicit-def: $vgpr6_vgpr7
                                        ; kill: killed $vgpr6_vgpr7
	s_and_saveexec_b64 s[10:11], s[6:7]
	s_xor_b64 s[6:7], exec, s[10:11]
	s_cbranch_execz .LBB2_3
; %bb.2:
	flat_load_dwordx2 v[6:7], v[2:3] offset:96
	v_add_u32_e32 v4, v4, v5
	v_ashrrev_i32_e32 v5, 31, v4
	v_mul_lo_u32 v5, v38, v5
	v_mul_lo_u32 v8, v39, v4
	v_mad_u64_u32 v[9:10], s[10:11], v38, v4, v[36:37]
	v_add3_u32 v10, v8, v10, v5
	buffer_store_dword v9, off, s[0:3], s32 offset:156 ; 4-byte Folded Spill
	s_nop 0
	buffer_store_dword v10, off, s[0:3], s32 offset:160 ; 4-byte Folded Spill
	s_waitcnt vmcnt(0) lgkmcnt(0)
	v_lshrrev_b64 v[20:21], 17, v[6:7]
.LBB2_3:
	s_andn2_saveexec_b64 s[6:7], s[6:7]
	s_cbranch_execz .LBB2_5
; %bb.4:
	flat_load_dword v4, v[2:3] offset:100
	v_add_co_u32_e32 v5, vcc, v19, v36
	v_mov_b32_e32 v39, v18
	v_addc_co_u32_e32 v6, vcc, v0, v37, vcc
	v_mov_b32_e32 v38, v17
	buffer_store_dword v5, off, s[0:3], s32 offset:156 ; 4-byte Folded Spill
	s_nop 0
	buffer_store_dword v6, off, s[0:3], s32 offset:160 ; 4-byte Folded Spill
	s_waitcnt vmcnt(0) lgkmcnt(0)
	v_lshrrev_b32_e32 v20, 6, v4
.LBB2_5:
	s_or_b64 exec, exec, s[6:7]
.LBB2_6:
	s_andn2_saveexec_b64 s[4:5], s[4:5]
	s_cbranch_execz .LBB2_8
; %bb.7:
	flat_load_dwordx2 v[4:5], v[2:3] offset:96
	v_mov_b32_e32 v39, v37
	v_mov_b32_e32 v38, v36
	s_waitcnt vmcnt(0) lgkmcnt(0)
	v_lshlrev_b64 v[20:21], 4, v[4:5]
	v_mov_b32_e32 v4, 0
	v_mov_b32_e32 v5, 0
	buffer_store_dword v4, off, s[0:3], s32 offset:156 ; 4-byte Folded Spill
	s_nop 0
	buffer_store_dword v5, off, s[0:3], s32 offset:160 ; 4-byte Folded Spill
.LBB2_8:
	s_or_b64 exec, exec, s[4:5]
	flat_load_dwordx2 v[27:28], v[2:3] offset:104
	flat_load_ushort v5, v[2:3] offset:8
	flat_load_dword v4, v[2:3] offset:4
	flat_load_dwordx4 v[6:9], v[2:3] offset:16
	s_load_dword s4, s[8:9], 0x0
	v_mov_b32_e32 v3, 0
	v_mov_b32_e32 v23, 0
	s_mov_b32 s6, 0
	v_mov_b32_e32 v24, 0
	s_waitcnt lgkmcnt(0)
	s_cmp_lt_u32 s12, s4
	s_cselect_b32 s4, 12, 18
	s_add_u32 s4, s8, s4
	s_addc_u32 s5, s9, 0
	s_waitcnt vmcnt(0)
	buffer_store_dword v6, off, s[0:3], s32 offset:204 ; 4-byte Folded Spill
	s_nop 0
	buffer_store_dword v7, off, s[0:3], s32 offset:208 ; 4-byte Folded Spill
	buffer_store_dword v8, off, s[0:3], s32 offset:212 ; 4-byte Folded Spill
	;; [unrolled: 1-line block ×3, first 2 shown]
	global_load_ushort v12, v3, s[4:5]
	s_trap 2
	ds_read_b32 v2, v0
	v_lshrrev_b64 v[4:5], 31, v[4:5]
	v_and_b32_e32 v5, 3, v4
	v_and_b32_e32 v4, 63, v11
	s_waitcnt lgkmcnt(0)
	v_cmp_gt_i32_e32 vcc, 0, v2
	v_readfirstlane_b32 s8, v2
	v_cmp_eq_u32_e64 s[4:5], 0, v4
	s_cbranch_vccnz .LBB2_10
; %bb.9:
	s_trap 2
	ds_read_b64 v[6:7], v0
	v_lshlrev_b64 v[2:3], 3, v[2:3]
	s_movk_i32 s6, 0xa8
	s_waitcnt lgkmcnt(0)
	v_add_co_u32_e32 v2, vcc, v6, v2
	v_addc_co_u32_e32 v3, vcc, v7, v3, vcc
	flat_load_dwordx2 v[2:3], v[2:3]
	v_and_b32_e32 v6, 0xffff, v5
	s_waitcnt vmcnt(0) lgkmcnt(0)
	v_mad_u64_u32 v[2:3], s[6:7], v6, s6, v[2:3]
	s_mov_b32 s6, 1
	flat_load_dwordx2 v[6:7], v[2:3] offset:504
	v_add_co_u32_e32 v25, vcc, 0x1f8, v2
	v_addc_co_u32_e32 v26, vcc, 0, v3, vcc
	s_waitcnt vmcnt(0) lgkmcnt(0)
	buffer_store_dword v6, off, s[0:3], s32 offset:100 ; 4-byte Folded Spill
	s_nop 0
	buffer_store_dword v7, off, s[0:3], s32 offset:104 ; 4-byte Folded Spill
	flat_load_dwordx2 v[34:35], v[2:3] offset:608
	v_cndmask_b32_e64 v3, 0, v26, s[4:5]
	v_cndmask_b32_e64 v2, 0, v25, s[4:5]
	s_branch .LBB2_11
.LBB2_10:
	v_mov_b32_e32 v25, 0
	v_mov_b32_e32 v2, 0
	;; [unrolled: 1-line block ×4, first 2 shown]
                                        ; implicit-def: $vgpr34_vgpr35
                                        ; implicit-def: $vgpr6_vgpr7
                                        ; kill: killed $vgpr6_vgpr7
.LBB2_11:
	s_trap 2
	ds_read_b32 v9, v0
	s_waitcnt lgkmcnt(0)
	v_cmp_gt_i32_e32 vcc, 0, v9
	s_cbranch_vccnz .LBB2_13
; %bb.12:
	s_trap 2
	ds_read_b64 v[6:7], v0
	v_mov_b32_e32 v10, 0
	v_lshlrev_b64 v[8:9], 3, v[9:10]
	v_and_b32_e32 v5, 0xffff, v5
	s_movk_i32 s4, 0xa8
	s_waitcnt lgkmcnt(0)
	v_add_co_u32_e32 v6, vcc, v6, v8
	v_addc_co_u32_e32 v7, vcc, v7, v9, vcc
	flat_load_dwordx2 v[6:7], v[6:7]
	v_cmp_eq_u32_e32 vcc, 0, v4
	s_waitcnt vmcnt(0) lgkmcnt(0)
	v_mad_u64_u32 v[23:24], s[4:5], v5, s4, v[6:7]
	flat_load_dwordx2 v[5:6], v[23:24]
	v_cndmask_b32_e32 v10, 0, v24, vcc
	v_cndmask_b32_e32 v9, 0, v23, vcc
	s_waitcnt vmcnt(0) lgkmcnt(0)
	buffer_store_dword v5, off, s[0:3], s32 offset:68 ; 4-byte Folded Spill
	s_nop 0
	buffer_store_dword v6, off, s[0:3], s32 offset:72 ; 4-byte Folded Spill
	flat_load_dwordx2 v[21:22], v[23:24] offset:104
	s_branch .LBB2_14
.LBB2_13:
	v_mov_b32_e32 v9, 0
	v_mov_b32_e32 v10, 0
                                        ; implicit-def: $vgpr21_vgpr22
                                        ; implicit-def: $vgpr5_vgpr6
                                        ; kill: killed $vgpr5_vgpr6
.LBB2_14:
	v_subrev_u32_e32 v5, 64, v1
	v_cmp_ge_i32_e32 vcc, v11, v5
	v_cmp_gt_u32_e64 s[4:5], s6, v4
	v_mov_b32_e32 v13, 0
	v_mov_b32_e32 v4, 0
	;; [unrolled: 1-line block ×4, first 2 shown]
	s_and_b64 s[24:25], vcc, s[4:5]
	buffer_store_dword v4, off, s[0:3], s32 offset:92 ; 4-byte Folded Spill
	s_nop 0
	buffer_store_dword v5, off, s[0:3], s32 offset:96 ; 4-byte Folded Spill
                                        ; implicit-def: $vgpr60_vgpr61
	s_and_saveexec_b64 s[4:5], s[24:25]
	s_cbranch_execz .LBB2_16
; %bb.15:
	flat_load_dwordx2 v[4:5], v[2:3] offset:56
	s_waitcnt vmcnt(0) lgkmcnt(0)
	buffer_store_dword v4, off, s[0:3], s32 offset:92 ; 4-byte Folded Spill
	s_nop 0
	buffer_store_dword v5, off, s[0:3], s32 offset:96 ; 4-byte Folded Spill
	flat_load_dwordx2 v[60:61], v[2:3] offset:104
.LBB2_16:
	s_or_b64 exec, exec, s[4:5]
	v_mov_b32_e32 v50, 0
	v_mov_b32_e32 v51, 0
	v_cmp_gt_u32_e64 s[4:5], s6, v11
                                        ; implicit-def: $vgpr52_vgpr53
	s_and_saveexec_b64 s[6:7], s[4:5]
	s_cbranch_execz .LBB2_18
; %bb.17:
	flat_load_dwordx2 v[50:51], v[9:10] offset:56
	s_waitcnt vmcnt(0) lgkmcnt(0)
	flat_load_dwordx2 v[52:53], v[50:51] glc
	s_waitcnt vmcnt(0)
	flat_load_dwordx4 v[13:16], v[9:10] offset:96
.LBB2_18:
	s_or_b64 exec, exec, s[6:7]
	v_mov_b32_e32 v40, 0
	v_cmp_ne_u64_e32 vcc, 0, v[38:39]
	v_mov_b32_e32 v41, 0
	s_and_saveexec_b64 s[26:27], vcc
	s_cbranch_execz .LBB2_1106
; %bb.19:
	v_add_co_u32_e32 v2, vcc, v17, v36
	s_ashr_i32 s6, s8, 31
	v_addc_co_u32_e32 v3, vcc, v18, v37, vcc
	s_lshr_b32 s6, s6, 29
	v_add_co_u32_e32 v2, vcc, v2, v19
	s_ashr_i32 s23, s22, 31
	s_add_i32 s8, s8, s6
	v_addc_co_u32_e32 v0, vcc, v3, v0, vcc
	s_lshl_b64 s[6:7], s[22:23], 2
	buffer_store_dword v25, off, s[0:3], s32 offset:260 ; 4-byte Folded Spill
	s_nop 0
	buffer_store_dword v26, off, s[0:3], s32 offset:264 ; 4-byte Folded Spill
	buffer_store_dword v23, off, s[0:3], s32 offset:252 ; 4-byte Folded Spill
	s_nop 0
	buffer_store_dword v24, off, s[0:3], s32 offset:256 ; 4-byte Folded Spill
	buffer_store_dword v2, off, s[0:3], s32 offset:84 ; 4-byte Folded Spill
	;; [unrolled: 1-line block ×3, first 2 shown]
	v_mov_b32_e32 v0, s7
	v_add_co_u32_e32 v2, vcc, s6, v44
	v_addc_co_u32_e32 v0, vcc, v45, v0, vcc
	v_add_co_u32_e32 v2, vcc, -4, v2
	v_addc_co_u32_e32 v3, vcc, -1, v0, vcc
	v_and_b32_e32 v0, 63, v31
	v_cmp_eq_u32_e64 s[12:13], 0, v0
	v_lshrrev_b32_e32 v0, 6, v1
	buffer_store_dword v2, off, s[0:3], s32 offset:188 ; 4-byte Folded Spill
	s_nop 0
	buffer_store_dword v3, off, s[0:3], s32 offset:192 ; 4-byte Folded Spill
	s_waitcnt vmcnt(0)
	buffer_store_dword v12, off, s[0:3], s32 offset:248 ; 4-byte Folded Spill
	buffer_store_dword v31, off, s[0:3], s32 offset:244 ; 4-byte Folded Spill
	;; [unrolled: 1-line block ×3, first 2 shown]
	buffer_load_dword v2, off, s[0:3], s32 offset:204 ; 4-byte Folded Reload
	buffer_load_dword v3, off, s[0:3], s32 offset:208 ; 4-byte Folded Reload
	;; [unrolled: 1-line block ×4, first 2 shown]
	v_lshlrev_b32_e32 v8, 3, v11
	s_ashr_i32 s10, s8, 3
	s_and_b32 s23, s10, -16
	v_cmp_ne_u32_e64 s[10:11], 64, v1
	v_cmp_ne_u32_sdwa s[42:43], v1, v12 src0_sel:DWORD src1_sel:WORD_0
	v_lshlrev_b32_e32 v26, 3, v1
	v_lshlrev_b32_e32 v30, 6, v1
	v_mov_b32_e32 v59, 0
	v_mov_b32_e32 v12, v59
	s_ashr_i32 s38, s8, 7
	v_cmp_ne_u64_e64 s[6:7], 0, v[50:51]
	s_waitcnt lgkmcnt(0)
	v_cmp_ne_u64_e64 s[8:9], 0, v[13:14]
	s_cmp_gt_i32 s22, 2
	s_mov_b32 s56, -1
	v_mov_b32_e32 v36, 0
	v_mov_b32_e32 v40, 0
	v_and_b32_e32 v23, 0x1fffff0, v20
	s_mov_b32 s29, 0
	v_mov_b32_e32 v24, v59
	s_mov_b64 s[40:41], 0
	s_cselect_b64 s[44:45], -1, 0
	s_mov_b64 s[46:47], 0x7ffffff8
	s_movk_i32 s39, 0xff
	s_movk_i32 s48, 0xff80
	;; [unrolled: 1-line block ×3, first 2 shown]
	s_mov_b32 s57, 0xffffff
	s_mov_b64 s[58:59], 0x7f800000
	s_movk_i32 s50, 0x80
	s_mov_b64 s[60:61], 0x47600001
	s_movk_i32 s51, 0x72
	;; [unrolled: 2-line block ×3, first 2 shown]
	s_mov_b32 s53, 0x7c0000
	s_brev_b32 s54, 62
	v_mov_b32_e32 v43, -1
	v_mov_b32_e32 v54, 0x7f800000
	v_mov_b32_e32 v55, 0x7f800001
	;; [unrolled: 1-line block ×4, first 2 shown]
	v_bfrev_b32_e32 v49, 0.5
	v_mov_b32_e32 v31, 0x7c
	v_mov_b32_e32 v9, 0
	v_mov_b32_e32 v37, 0
	v_mov_b32_e32 v41, 0
	s_waitcnt vmcnt(1)
	v_add_co_u32_e32 v0, vcc, v4, v8
	buffer_store_dword v0, off, s[0:3], s32 offset:220 ; 4-byte Folded Spill
	s_waitcnt vmcnt(1)
	v_addc_co_u32_e32 v0, vcc, 0, v5, vcc
	buffer_store_dword v0, off, s[0:3], s32 offset:224 ; 4-byte Folded Spill
	v_and_b32_e32 v0, 1, v27
	v_cmp_eq_u32_e64 s[14:15], 1, v0
	v_add_co_u32_e32 v0, vcc, v2, v8
	buffer_load_dword v6, off, s[0:3], s32 offset:92 ; 4-byte Folded Reload
	buffer_load_dword v7, off, s[0:3], s32 offset:96 ; 4-byte Folded Reload
	s_waitcnt vmcnt(0)
	v_cmp_ne_u64_e64 s[16:17], 0, v[6:7]
	buffer_store_dword v0, off, s[0:3], s32 offset:228 ; 4-byte Folded Spill
	v_addc_co_u32_e32 v0, vcc, 0, v3, vcc
	buffer_store_dword v0, off, s[0:3], s32 offset:232 ; 4-byte Folded Spill
	buffer_load_dword v2, off, s[0:3], s32 offset:156 ; 4-byte Folded Reload
	buffer_load_dword v3, off, s[0:3], s32 offset:160 ; 4-byte Folded Reload
	s_waitcnt vmcnt(1)
	v_add_co_u32_e32 v0, vcc, v2, v4
	s_waitcnt vmcnt(0)
	v_addc_co_u32_e32 v2, vcc, v3, v5, vcc
	v_add_co_u32_e32 v32, vcc, v0, v8
	v_mov_b32_e32 v0, v11
	buffer_store_dword v8, off, s[0:3], s32 offset:152 ; 4-byte Folded Spill
	buffer_store_dword v0, off, s[0:3], s32 offset:60 ; 4-byte Folded Spill
	s_nop 0
	buffer_store_dword v1, off, s[0:3], s32 offset:64 ; 4-byte Folded Spill
	buffer_load_dword v4, off, s[0:3], s32 offset:68 ; 4-byte Folded Reload
	buffer_load_dword v5, off, s[0:3], s32 offset:72 ; 4-byte Folded Reload
	v_addc_co_u32_e32 v33, vcc, 0, v2, vcc
	v_lshlrev_b64 v[2:3], 4, v[11:12]
	v_mov_b32_e32 v8, 0xff800000
	s_waitcnt vmcnt(1)
	v_add_co_u32_e32 v0, vcc, v4, v2
	v_mov_b32_e32 v2, v59
	v_lshlrev_b64 v[11:12], 4, v[1:2]
	buffer_store_dword v0, off, s[0:3], s32 offset:236 ; 4-byte Folded Spill
	s_waitcnt vmcnt(1)
	v_addc_co_u32_e32 v0, vcc, v5, v3, vcc
	buffer_store_dword v0, off, s[0:3], s32 offset:240 ; 4-byte Folded Spill
	buffer_store_dword v36, off, s[0:3], s32 offset:164 ; 4-byte Folded Spill
	s_nop 0
	buffer_store_dword v37, off, s[0:3], s32 offset:168 ; 4-byte Folded Spill
	buffer_store_dword v38, off, s[0:3], s32 offset:172 ; 4-byte Folded Spill
	;; [unrolled: 1-line block ×4, first 2 shown]
	s_nop 0
	buffer_store_dword v45, off, s[0:3], s32 offset:120 ; 4-byte Folded Spill
	buffer_store_dword v23, off, s[0:3], s32 offset:180 ; 4-byte Folded Spill
	s_nop 0
	buffer_store_dword v24, off, s[0:3], s32 offset:184 ; 4-byte Folded Spill
	buffer_store_dword v30, off, s[0:3], s32 offset:196 ; 4-byte Folded Spill
	s_branch .LBB2_21
.LBB2_20:                               ;   in Loop: Header=BB2_21 Depth=1
	s_or_b64 exec, exec, s[18:19]
	v_add_co_u32_e32 v34, vcc, 1, v34
	v_addc_co_u32_e32 v35, vcc, 0, v35, vcc
	s_waitcnt vmcnt(0)
	v_add_co_u32_e32 v36, vcc, v36, v23
	v_addc_co_u32_e32 v37, vcc, 0, v37, vcc
	v_add_co_u32_e32 v32, vcc, v32, v23
	v_addc_co_u32_e32 v33, vcc, 0, v33, vcc
	v_cmp_ge_u64_e32 vcc, v[36:37], v[38:39]
	s_or_b64 s[40:41], vcc, s[40:41]
	s_andn2_b64 exec, exec, s[40:41]
	s_cbranch_execz .LBB2_1105
.LBB2_21:                               ; =>This Loop Header: Depth=1
                                        ;     Child Loop BB2_26 Depth 2
                                        ;     Child Loop BB2_45 Depth 2
	;; [unrolled: 1-line block ×5, first 2 shown]
                                        ;       Child Loop BB2_75 Depth 3
                                        ;       Child Loop BB2_94 Depth 3
	;; [unrolled: 1-line block ×3, first 2 shown]
                                        ;         Child Loop BB2_123 Depth 4
                                        ;       Child Loop BB2_586 Depth 3
                                        ;       Child Loop BB2_111 Depth 3
                                        ;     Child Loop BB2_601 Depth 2
                                        ;       Child Loop BB2_609 Depth 3
                                        ;     Child Loop BB2_1092 Depth 2
	buffer_load_dword v2, off, s[0:3], s32 offset:188 ; 4-byte Folded Reload
	buffer_load_dword v3, off, s[0:3], s32 offset:192 ; 4-byte Folded Reload
	s_waitcnt vmcnt(0) lgkmcnt(0)
	flat_load_dword v0, v[2:3]
	v_sub_co_u32_e32 v2, vcc, v38, v36
	v_subb_co_u32_e32 v3, vcc, v39, v37, vcc
	v_cmp_lt_u64_e32 vcc, v[23:24], v[2:3]
	v_cndmask_b32_e32 v2, v2, v23, vcc
	v_lshl_add_u32 v3, v2, 1, 14
	v_and_b32_e32 v3, 0x7fffff0, v3
	buffer_store_dword v3, off, s[0:3], s32 offset:124 ; 4-byte Folded Spill
	s_and_saveexec_b64 s[20:21], s[6:7]
	s_cbranch_execz .LBB2_37
; %bb.22:                               ;   in Loop: Header=BB2_21 Depth=1
	v_add_co_u32_e32 v17, vcc, 1, v15
	v_addc_co_u32_e32 v18, vcc, 0, v16, vcc
	v_add_co_u32_e32 v3, vcc, 8, v52
	v_addc_co_u32_e32 v4, vcc, 0, v53, vcc
	v_cmp_lt_u64_e32 vcc, v[3:4], v[17:18]
	s_and_saveexec_b64 s[72:73], vcc
	s_cbranch_execz .LBB2_34
; %bb.23:                               ;   in Loop: Header=BB2_21 Depth=1
	s_mov_b32 s28, 0
	v_cmp_eq_u32_e32 vcc, 0, v9
	s_mov_b64 s[74:75], 0
                                        ; implicit-def: $sgpr76_sgpr77
                                        ; implicit-def: $sgpr78_sgpr79
                                        ; implicit-def: $sgpr88_sgpr89
	s_branch .LBB2_26
.LBB2_24:                               ;   in Loop: Header=BB2_26 Depth=2
	s_or_b64 exec, exec, s[34:35]
	s_andn2_b64 s[18:19], s[88:89], exec
	s_and_b64 s[88:89], s[94:95], exec
	s_or_b64 s[88:89], s[18:19], s[88:89]
	s_andn2_b64 s[18:19], s[78:79], exec
	s_and_b64 s[78:79], s[92:93], exec
	s_or_b64 s[78:79], s[18:19], s[78:79]
.LBB2_25:                               ;   in Loop: Header=BB2_26 Depth=2
	s_or_b64 exec, exec, s[90:91]
	s_and_b64 s[18:19], exec, s[78:79]
	s_or_b64 s[74:75], s[18:19], s[74:75]
	s_andn2_b64 s[18:19], s[76:77], exec
	s_and_b64 s[76:77], s[88:89], exec
	s_or_b64 s[76:77], s[18:19], s[76:77]
	s_andn2_b64 exec, exec, s[74:75]
	s_cbranch_execz .LBB2_31
.LBB2_26:                               ;   Parent Loop BB2_21 Depth=1
                                        ; =>  This Inner Loop Header: Depth=2
	s_sleep 1
	s_waitcnt vmcnt(0) lgkmcnt(0)
	flat_load_dwordx2 v[52:53], v[50:51] glc
	v_mov_b32_e32 v9, 1
	s_or_b64 s[88:89], s[88:89], exec
	s_or_b64 s[78:79], s[78:79], exec
                                        ; implicit-def: $vgpr3
	s_and_saveexec_b64 s[90:91], vcc
	s_cbranch_execz .LBB2_25
; %bb.27:                               ;   in Loop: Header=BB2_26 Depth=2
	s_add_i32 s28, s28, 1
	s_cmpk_lg_i32 s28, 0x2710
	s_cselect_b64 s[30:31], -1, 0
	s_cmpk_eq_i32 s28, 0x2710
	s_mov_b64 s[92:93], -1
	s_mov_b64 s[94:95], -1
                                        ; implicit-def: $vgpr3
	s_cbranch_scc1 .LBB2_29
; %bb.28:                               ;   in Loop: Header=BB2_26 Depth=2
	v_mov_b32_e32 v9, 1
	s_and_saveexec_b64 s[34:35], s[30:31]
	s_cbranch_execz .LBB2_24
	s_branch .LBB2_30
.LBB2_29:                               ;   in Loop: Header=BB2_26 Depth=2
	s_trap 2
	s_waitcnt vmcnt(0) lgkmcnt(0)
	ds_read_b64 v[3:4], v0
	s_andn2_b64 s[30:31], s[30:31], exec
	s_mov_b32 s28, 0
	s_mov_b64 s[94:95], 0
	s_waitcnt lgkmcnt(0)
	flat_load_dword v3, v[3:4] glc
	s_waitcnt vmcnt(0) lgkmcnt(0)
	buffer_wbinvl1_vol
	v_cmp_eq_u32_e64 s[18:19], 0, v3
	s_and_b64 s[18:19], s[18:19], exec
	s_or_b64 s[30:31], s[30:31], s[18:19]
	v_mov_b32_e32 v9, 1
	s_and_saveexec_b64 s[34:35], s[30:31]
	s_cbranch_execz .LBB2_24
.LBB2_30:                               ;   in Loop: Header=BB2_26 Depth=2
	s_waitcnt vmcnt(0) lgkmcnt(0)
	v_add_co_u32_e64 v4, s[18:19], 8, v52
	v_addc_co_u32_e64 v5, s[18:19], 0, v53, s[18:19]
	v_cmp_ge_u64_e64 s[18:19], v[4:5], v[17:18]
	v_mov_b32_e32 v9, 0
	s_or_b64 s[94:95], s[94:95], exec
	s_orn2_b64 s[92:93], s[18:19], exec
	s_branch .LBB2_24
.LBB2_31:                               ;   in Loop: Header=BB2_21 Depth=1
	s_or_b64 exec, exec, s[74:75]
	s_xor_b64 s[18:19], s[76:77], -1
	s_and_saveexec_b64 s[74:75], s[18:19]
	s_xor_b64 s[18:19], exec, s[74:75]
	s_cbranch_execz .LBB2_33
; %bb.32:                               ;   in Loop: Header=BB2_21 Depth=1
	v_mov_b32_e32 v9, 1
	s_waitcnt vmcnt(0) lgkmcnt(0)
	ds_write_b32 v0, v3
	s_trap 2
.LBB2_33:                               ;   in Loop: Header=BB2_21 Depth=1
	s_or_b64 exec, exec, s[18:19]
.LBB2_34:                               ;   in Loop: Header=BB2_21 Depth=1
	s_or_b64 exec, exec, s[72:73]
	s_and_saveexec_b64 s[18:19], s[8:9]
	s_cbranch_execz .LBB2_36
; %bb.35:                               ;   in Loop: Header=BB2_21 Depth=1
	buffer_load_dword v6, off, s[0:3], s32 offset:124 ; 4-byte Folded Reload
	v_and_b32_e32 v58, 0x7ffffff8, v15
	v_and_b32_e32 v3, 7, v15
	v_mad_u64_u32 v[3:4], s[72:73], v3, 24, v[13:14]
	v_cmp_eq_u64_e32 vcc, s[46:47], v[58:59]
	v_mov_b32_e32 v5, s23
	s_waitcnt vmcnt(0)
	v_cndmask_b32_e32 v5, v6, v5, vcc
	v_ashrrev_i32_e32 v6, 31, v5
	flat_store_dwordx2 v[3:4], v[5:6] offset:8
	s_waitcnt vmcnt(0)
.LBB2_36:                               ;   in Loop: Header=BB2_21 Depth=1
	s_or_b64 exec, exec, s[18:19]
	v_mov_b32_e32 v15, v17
	v_mov_b32_e32 v16, v18
.LBB2_37:                               ;   in Loop: Header=BB2_21 Depth=1
	s_or_b64 exec, exec, s[20:21]
	s_and_saveexec_b64 s[18:19], s[10:11]
	s_cbranch_execz .LBB2_56
; %bb.38:                               ;   in Loop: Header=BB2_21 Depth=1
	s_and_saveexec_b64 s[20:21], s[42:43]
	s_xor_b64 s[20:21], exec, s[20:21]
	s_cbranch_execz .LBB2_53
; %bb.39:                               ;   in Loop: Header=BB2_21 Depth=1
	s_and_saveexec_b64 s[72:73], s[12:13]
	s_cbranch_execz .LBB2_52
; %bb.40:                               ;   in Loop: Header=BB2_21 Depth=1
	s_mov_b64 s[76:77], exec
	v_mbcnt_lo_u32_b32 v3, s76, 0
	v_mbcnt_hi_u32_b32 v3, s77, v3
	v_cmp_eq_u32_e32 vcc, 0, v3
	s_waitcnt vmcnt(0) lgkmcnt(0)
	buffer_wbinvl1_vol
	s_and_saveexec_b64 s[74:75], vcc
	s_cbranch_execz .LBB2_42
; %bb.41:                               ;   in Loop: Header=BB2_21 Depth=1
	s_bcnt1_i32_b64 s28, s[76:77]
	v_mov_b32_e32 v58, s28
	ds_add_u64 v0, v[58:59]
	s_trap 2
.LBB2_42:                               ;   in Loop: Header=BB2_21 Depth=1
	s_or_b64 exec, exec, s[74:75]
	s_trap 2
	ds_read_b64 v[3:4], v0
	s_waitcnt lgkmcnt(0)
	buffer_load_dword v5, off, s[0:3], s32 offset:128 ; 4-byte Folded Reload
	s_waitcnt vmcnt(0)
	v_add_co_u32_e32 v40, vcc, v40, v5
	v_addc_co_u32_e32 v41, vcc, 0, v41, vcc
	v_cmp_lt_u64_e32 vcc, v[3:4], v[40:41]
	s_and_saveexec_b64 s[74:75], vcc
	s_cbranch_execz .LBB2_51
; %bb.43:                               ;   in Loop: Header=BB2_21 Depth=1
	s_mov_b32 s28, 0
	s_mov_b64 s[76:77], 0
                                        ; implicit-def: $sgpr78_sgpr79
                                        ; implicit-def: $sgpr88_sgpr89
	s_branch .LBB2_45
.LBB2_44:                               ;   in Loop: Header=BB2_45 Depth=2
	s_or_b64 exec, exec, s[92:93]
	s_and_b64 s[90:91], exec, s[94:95]
	s_or_b64 s[76:77], s[90:91], s[76:77]
	s_andn2_b64 s[78:79], s[78:79], exec
	s_and_b64 s[90:91], s[88:89], exec
	s_or_b64 s[78:79], s[78:79], s[90:91]
	s_andn2_b64 exec, exec, s[76:77]
	s_cbranch_execz .LBB2_49
.LBB2_45:                               ;   Parent Loop BB2_21 Depth=1
                                        ; =>  This Inner Loop Header: Depth=2
	s_add_i32 s28, s28, 1
	s_cmpk_lg_i32 s28, 0x2710
	s_cselect_b64 s[90:91], -1, 0
	s_and_b64 vcc, exec, s[90:91]
	s_cbranch_vccz .LBB2_47
; %bb.46:                               ;   in Loop: Header=BB2_45 Depth=2
	s_mov_b64 s[94:95], -1
	s_or_b64 s[88:89], s[88:89], exec
	s_and_saveexec_b64 s[92:93], s[90:91]
	s_cbranch_execz .LBB2_44
	s_branch .LBB2_48
.LBB2_47:                               ;   in Loop: Header=BB2_45 Depth=2
	s_trap 2
	ds_read_b64 v[3:4], v0
	s_andn2_b64 s[90:91], s[90:91], exec
	s_mov_b32 s28, 0
	s_waitcnt lgkmcnt(0)
	flat_load_dword v3, v[3:4] glc
	s_waitcnt vmcnt(0) lgkmcnt(0)
	buffer_wbinvl1_vol
	v_cmp_eq_u32_e32 vcc, 0, v3
	s_and_b64 s[92:93], vcc, exec
	s_or_b64 s[90:91], s[90:91], s[92:93]
	s_mov_b64 s[94:95], -1
	s_or_b64 s[88:89], s[88:89], exec
	s_and_saveexec_b64 s[92:93], s[90:91]
	s_cbranch_execz .LBB2_44
.LBB2_48:                               ;   in Loop: Header=BB2_45 Depth=2
	s_sleep 1
	s_trap 2
	ds_read_b64 v[3:4], v0
	s_waitcnt lgkmcnt(0)
	s_andn2_b64 s[88:89], s[88:89], exec
	v_cmp_ge_u64_e32 vcc, v[3:4], v[40:41]
	s_orn2_b64 s[94:95], vcc, exec
	s_branch .LBB2_44
.LBB2_49:                               ;   in Loop: Header=BB2_21 Depth=1
	s_or_b64 exec, exec, s[76:77]
	s_and_saveexec_b64 s[76:77], s[78:79]
	s_xor_b64 s[76:77], exec, s[76:77]
	s_cbranch_execz .LBB2_51
; %bb.50:                               ;   in Loop: Header=BB2_21 Depth=1
	v_mov_b32_e32 v3, 1
	ds_write_b32 v0, v3
	s_trap 2
.LBB2_51:                               ;   in Loop: Header=BB2_21 Depth=1
	s_or_b64 exec, exec, s[74:75]
	;;#ASMSTART
	s_wakeup
	;;#ASMEND
.LBB2_52:                               ;   in Loop: Header=BB2_21 Depth=1
	s_or_b64 exec, exec, s[72:73]
.LBB2_53:                               ;   in Loop: Header=BB2_21 Depth=1
	s_andn2_saveexec_b64 s[20:21], s[20:21]
	s_cbranch_execz .LBB2_55
; %bb.54:                               ;   in Loop: Header=BB2_21 Depth=1
	s_waitcnt vmcnt(0) lgkmcnt(0)
	buffer_wbinvl1_vol
	s_barrier
.LBB2_55:                               ;   in Loop: Header=BB2_21 Depth=1
	s_or_b64 exec, exec, s[20:21]
.LBB2_56:                               ;   in Loop: Header=BB2_21 Depth=1
	s_or_b64 exec, exec, s[18:19]
	buffer_load_dword v3, off, s[0:3], s32 offset:152 ; 4-byte Folded Reload
	buffer_load_dword v27, off, s[0:3], s32 offset:60 ; 4-byte Folded Reload
	;; [unrolled: 1-line block ×3, first 2 shown]
	v_and_b32_e32 v6, 7, v21
	v_add_u32_e32 v18, 1, v21
	s_waitcnt vmcnt(0)
	v_sub_u32_e32 v42, v2, v3
	v_cmp_lt_i32_e64 s[18:19], 0, v42
	s_and_saveexec_b64 s[20:21], s[18:19]
	s_cbranch_execz .LBB2_64
; %bb.57:                               ;   in Loop: Header=BB2_21 Depth=1
	buffer_load_dword v7, off, s[0:3], s32 offset:84 ; 4-byte Folded Reload
	buffer_load_dword v4, off, s[0:3], s32 offset:88 ; 4-byte Folded Reload
	s_waitcnt lgkmcnt(0)
	v_ashrrev_i32_e32 v3, 31, v0
	v_mul_lo_u32 v2, v6, s38
	s_waitcnt vmcnt(1)
	v_mad_u64_u32 v[28:29], s[72:73], v7, v0, v[32:33]
	s_waitcnt vmcnt(0)
	v_mul_lo_u32 v4, v4, v0
	v_mul_lo_u32 v5, v7, v3
	v_ashrrev_i32_e32 v3, 31, v2
	v_lshlrev_b64 v[2:3], 4, v[2:3]
	v_mul_lo_u32 v0, v7, v0
	v_add3_u32 v29, v4, v29, v5
	buffer_load_dword v4, off, s[0:3], s32 offset:236 ; 4-byte Folded Reload
	s_mov_b64 s[72:73], 0
	v_add_lshl_u32 v0, v32, v0, 3
	v_mov_b32_e32 v7, v42
	s_waitcnt vmcnt(0)
	v_add_co_u32_e32 v2, vcc, v4, v2
	buffer_load_dword v4, off, s[0:3], s32 offset:240 ; 4-byte Folded Reload
	s_waitcnt vmcnt(0)
	v_addc_co_u32_e32 v3, vcc, v4, v3, vcc
	buffer_load_dword v4, off, s[0:3], s32 offset:60 ; 4-byte Folded Reload
	buffer_load_dword v5, off, s[0:3], s32 offset:64 ; 4-byte Folded Reload
	s_waitcnt vmcnt(1)
	v_mov_b32_e32 v27, v4
	s_branch .LBB2_59
.LBB2_58:                               ;   in Loop: Header=BB2_59 Depth=2
	s_or_b64 exec, exec, s[74:75]
	v_add_co_u32_e32 v28, vcc, v28, v26
	v_sub_u32_e32 v7, v7, v26
	v_addc_co_u32_e32 v29, vcc, 0, v29, vcc
	s_waitcnt vmcnt(0)
	v_alignbit_b32 v17, v20, v10, v0
	v_alignbit_b32 v19, v19, v20, v0
	v_mov_b32_e32 v20, v18
	v_cmp_gt_i32_e32 vcc, 1, v7
	global_store_dwordx4 v[2:3], v[17:20], off
	s_or_b64 s[72:73], vcc, s[72:73]
	v_add_co_u32_e32 v2, vcc, v2, v11
	v_add_u32_e32 v27, v27, v1
	v_add_u32_e32 v0, v0, v30
	v_addc_co_u32_e32 v3, vcc, v3, v12, vcc
	s_andn2_b64 exec, exec, s[72:73]
	s_cbranch_execz .LBB2_63
.LBB2_59:                               ;   Parent Loop BB2_21 Depth=1
                                        ; =>  This Inner Loop Header: Depth=2
	v_and_b32_e32 v4, -4, v28
	s_waitcnt vmcnt(0)
	v_mov_b32_e32 v5, v29
	global_load_dword v10, v[4:5], off glc slc
	v_min_u32_e32 v17, 8, v7
	v_and_b32_e32 v19, 3, v28
	v_add_u32_e32 v58, v19, v17
	v_cmp_lt_u32_e32 vcc, 4, v58
	v_mov_b32_e32 v19, 0
	v_mov_b32_e32 v20, 0
	s_and_saveexec_b64 s[74:75], vcc
	s_cbranch_execz .LBB2_61
; %bb.60:                               ;   in Loop: Header=BB2_59 Depth=2
	global_load_dword v20, v[4:5], off offset:4 glc slc
.LBB2_61:                               ;   in Loop: Header=BB2_59 Depth=2
	s_or_b64 exec, exec, s[74:75]
	v_cmp_lt_u64_e32 vcc, 8, v[58:59]
	s_and_saveexec_b64 s[74:75], vcc
	s_cbranch_execz .LBB2_58
; %bb.62:                               ;   in Loop: Header=BB2_59 Depth=2
	global_load_dword v19, v[4:5], off offset:8 glc slc
	s_branch .LBB2_58
.LBB2_63:                               ;   in Loop: Header=BB2_21 Depth=1
	s_or_b64 exec, exec, s[72:73]
.LBB2_64:                               ;   in Loop: Header=BB2_21 Depth=1
	s_or_b64 exec, exec, s[20:21]
	v_and_b32_e32 v58, 0x7ffffff8, v21
	v_cmp_eq_u64_e32 vcc, s[46:47], v[58:59]
	v_cmp_gt_i32_e64 s[20:21], s38, v27
	s_and_b64 s[20:21], vcc, s[20:21]
	s_and_saveexec_b64 s[72:73], s[20:21]
	s_cbranch_execz .LBB2_67
; %bb.65:                               ;   in Loop: Header=BB2_21 Depth=1
	v_mul_lo_u32 v2, v6, s38
	v_ashrrev_i32_e32 v28, 31, v27
	v_lshlrev_b64 v[4:5], 4, v[27:28]
	v_mov_b32_e32 v17, v59
	v_ashrrev_i32_e32 v3, 31, v2
	v_lshlrev_b64 v[2:3], 4, v[2:3]
	s_mov_b64 s[74:75], 0
	s_waitcnt lgkmcnt(0)
	v_add_co_u32_e32 v0, vcc, v4, v2
	v_addc_co_u32_e32 v3, vcc, v5, v3, vcc
	buffer_load_dword v4, off, s[0:3], s32 offset:68 ; 4-byte Folded Reload
	buffer_load_dword v5, off, s[0:3], s32 offset:72 ; 4-byte Folded Reload
	s_waitcnt vmcnt(1)
	v_add_co_u32_e32 v2, vcc, v4, v0
	s_waitcnt vmcnt(0)
	v_addc_co_u32_e32 v3, vcc, v5, v3, vcc
.LBB2_66:                               ;   Parent Loop BB2_21 Depth=1
                                        ; =>  This Inner Loop Header: Depth=2
	v_mov_b32_e32 v19, v17
	v_mov_b32_e32 v20, v18
	v_add_u32_e32 v27, v27, v1
	global_store_dwordx4 v[2:3], v[17:20], off
	v_add_co_u32_e32 v2, vcc, v2, v11
	v_cmp_le_i32_e64 s[20:21], s38, v27
	s_or_b64 s[74:75], s[20:21], s[74:75]
	v_addc_co_u32_e32 v3, vcc, v3, v12, vcc
	s_andn2_b64 exec, exec, s[74:75]
	s_cbranch_execnz .LBB2_66
.LBB2_67:                               ;   in Loop: Header=BB2_21 Depth=1
	s_or_b64 exec, exec, s[72:73]
	buffer_store_dword v32, off, s[0:3], s32 offset:132 ; 4-byte Folded Spill
	s_nop 0
	buffer_store_dword v33, off, s[0:3], s32 offset:136 ; 4-byte Folded Spill
	buffer_load_dword v2, off, s[0:3], s32 offset:156 ; 4-byte Folded Reload
	buffer_load_dword v3, off, s[0:3], s32 offset:160 ; 4-byte Folded Reload
	v_add_co_u32_e64 v46, s[20:21], 1, v21
	v_addc_co_u32_e64 v47, s[20:21], 0, v22, s[20:21]
	s_waitcnt vmcnt(0)
	v_add_co_u32_e32 v7, vcc, v36, v2
	buffer_store_dword v36, off, s[0:3], s32 offset:140 ; 4-byte Folded Spill
	s_nop 0
	buffer_store_dword v37, off, s[0:3], s32 offset:144 ; 4-byte Folded Spill
	v_addc_co_u32_e32 v2, vcc, v37, v3, vcc
	s_andn2_b64 vcc, exec, s[44:45]
	buffer_store_dword v2, off, s[0:3], s32 offset:148 ; 4-byte Folded Spill
	s_cbranch_vccnz .LBB2_597
; %bb.68:                               ;   in Loop: Header=BB2_21 Depth=1
	s_waitcnt lgkmcnt(0)
	buffer_load_dword v0, off, s[0:3], s32 offset:220 ; 4-byte Folded Reload
	s_mov_b32 s55, 2
	buffer_store_dword v7, off, s[0:3], s32 offset:200 ; 4-byte Folded Spill
	s_waitcnt vmcnt(1)
	v_add_co_u32_e32 v3, vcc, v0, v7
	buffer_load_dword v0, off, s[0:3], s32 offset:224 ; 4-byte Folded Reload
	v_add_u16_e32 v7, 1, v21
	s_waitcnt vmcnt(0)
	v_addc_co_u32_e32 v4, vcc, v0, v2, vcc
	buffer_store_dword v3, off, s[0:3], s32 offset:108 ; 4-byte Folded Spill
	s_nop 0
	buffer_store_dword v4, off, s[0:3], s32 offset:112 ; 4-byte Folded Spill
	s_branch .LBB2_70
.LBB2_69:                               ;   in Loop: Header=BB2_70 Depth=2
	s_or_b64 exec, exec, s[72:73]
	v_add_co_u32_e32 v34, vcc, 1, v34
	v_addc_co_u32_e32 v35, vcc, 0, v35, vcc
	s_add_i32 s55, s55, 1
	v_add_co_u32_e32 v46, vcc, 1, v46
	v_addc_co_u32_e32 v47, vcc, 0, v47, vcc
	s_cmp_eq_u32 s55, s22
	v_add_u16_e32 v7, 1, v7
	s_cbranch_scc1 .LBB2_598
.LBB2_70:                               ;   Parent Loop BB2_21 Depth=1
                                        ; =>  This Loop Header: Depth=2
                                        ;       Child Loop BB2_75 Depth 3
                                        ;       Child Loop BB2_94 Depth 3
	;; [unrolled: 1-line block ×3, first 2 shown]
                                        ;         Child Loop BB2_123 Depth 4
                                        ;       Child Loop BB2_586 Depth 3
                                        ;       Child Loop BB2_111 Depth 3
	s_sub_i32 s28, s22, s55
	s_lshl_b64 s[20:21], s[28:29], 2
	s_waitcnt lgkmcnt(0)
	v_mov_b32_e32 v0, s21
	v_add_co_u32_e32 v2, vcc, s20, v44
	v_addc_co_u32_e32 v3, vcc, v45, v0, vcc
	flat_load_dword v0, v[2:3]
	s_and_saveexec_b64 s[72:73], s[6:7]
	s_cbranch_execz .LBB2_86
; %bb.71:                               ;   in Loop: Header=BB2_70 Depth=2
	v_add_co_u32_e32 v17, vcc, 1, v15
	v_addc_co_u32_e32 v18, vcc, 0, v16, vcc
	v_add_co_u32_e32 v2, vcc, 8, v52
	v_addc_co_u32_e32 v3, vcc, 0, v53, vcc
	v_cmp_lt_u64_e32 vcc, v[2:3], v[17:18]
	s_and_saveexec_b64 s[74:75], vcc
	s_cbranch_execz .LBB2_83
; %bb.72:                               ;   in Loop: Header=BB2_70 Depth=2
	s_mov_b32 s28, 0
	v_cmp_eq_u32_e32 vcc, 0, v9
	s_mov_b64 s[76:77], 0
                                        ; implicit-def: $sgpr78_sgpr79
                                        ; implicit-def: $sgpr88_sgpr89
                                        ; implicit-def: $sgpr90_sgpr91
	s_branch .LBB2_75
.LBB2_73:                               ;   in Loop: Header=BB2_75 Depth=3
	s_or_b64 exec, exec, s[36:37]
	s_andn2_b64 s[20:21], s[90:91], exec
	s_and_b64 s[90:91], s[30:31], exec
	s_or_b64 s[90:91], s[20:21], s[90:91]
	s_andn2_b64 s[20:21], s[88:89], exec
	s_and_b64 s[88:89], s[94:95], exec
	s_or_b64 s[88:89], s[20:21], s[88:89]
.LBB2_74:                               ;   in Loop: Header=BB2_75 Depth=3
	s_or_b64 exec, exec, s[92:93]
	s_and_b64 s[20:21], exec, s[88:89]
	s_or_b64 s[76:77], s[20:21], s[76:77]
	s_andn2_b64 s[20:21], s[78:79], exec
	s_and_b64 s[78:79], s[90:91], exec
	s_or_b64 s[78:79], s[20:21], s[78:79]
	s_andn2_b64 exec, exec, s[76:77]
	s_cbranch_execz .LBB2_80
.LBB2_75:                               ;   Parent Loop BB2_21 Depth=1
                                        ;     Parent Loop BB2_70 Depth=2
                                        ; =>    This Inner Loop Header: Depth=3
	s_sleep 1
	s_waitcnt vmcnt(0) lgkmcnt(0)
	flat_load_dwordx2 v[52:53], v[50:51] glc
	v_mov_b32_e32 v9, 1
	s_or_b64 s[90:91], s[90:91], exec
	s_or_b64 s[88:89], s[88:89], exec
                                        ; implicit-def: $vgpr2
	s_and_saveexec_b64 s[92:93], vcc
	s_cbranch_execz .LBB2_74
; %bb.76:                               ;   in Loop: Header=BB2_75 Depth=3
	s_add_i32 s28, s28, 1
	s_cmpk_lg_i32 s28, 0x2710
	s_cselect_b64 s[34:35], -1, 0
	s_cmpk_eq_i32 s28, 0x2710
	s_mov_b64 s[94:95], -1
	s_mov_b64 s[30:31], -1
                                        ; implicit-def: $vgpr2
	s_cbranch_scc1 .LBB2_78
; %bb.77:                               ;   in Loop: Header=BB2_75 Depth=3
	v_mov_b32_e32 v9, 1
	s_and_saveexec_b64 s[36:37], s[34:35]
	s_cbranch_execz .LBB2_73
	s_branch .LBB2_79
.LBB2_78:                               ;   in Loop: Header=BB2_75 Depth=3
	s_trap 2
	s_waitcnt vmcnt(0) lgkmcnt(0)
	ds_read_b64 v[2:3], v0
	s_andn2_b64 s[34:35], s[34:35], exec
	s_mov_b32 s28, 0
	s_mov_b64 s[30:31], 0
	s_waitcnt lgkmcnt(0)
	flat_load_dword v2, v[2:3] glc
	s_waitcnt vmcnt(0) lgkmcnt(0)
	buffer_wbinvl1_vol
	v_cmp_eq_u32_e64 s[20:21], 0, v2
	s_and_b64 s[20:21], s[20:21], exec
	s_or_b64 s[34:35], s[34:35], s[20:21]
	v_mov_b32_e32 v9, 1
	s_and_saveexec_b64 s[36:37], s[34:35]
	s_cbranch_execz .LBB2_73
.LBB2_79:                               ;   in Loop: Header=BB2_75 Depth=3
	s_waitcnt vmcnt(0) lgkmcnt(0)
	v_add_co_u32_e64 v3, s[20:21], 8, v52
	v_addc_co_u32_e64 v4, s[20:21], 0, v53, s[20:21]
	v_cmp_ge_u64_e64 s[20:21], v[3:4], v[17:18]
	v_mov_b32_e32 v9, 0
	s_or_b64 s[30:31], s[30:31], exec
	s_orn2_b64 s[94:95], s[20:21], exec
	s_branch .LBB2_73
.LBB2_80:                               ;   in Loop: Header=BB2_70 Depth=2
	s_or_b64 exec, exec, s[76:77]
	s_xor_b64 s[20:21], s[78:79], -1
	s_and_saveexec_b64 s[76:77], s[20:21]
	s_xor_b64 s[20:21], exec, s[76:77]
	s_cbranch_execz .LBB2_82
; %bb.81:                               ;   in Loop: Header=BB2_70 Depth=2
	v_mov_b32_e32 v9, 1
	s_waitcnt vmcnt(0) lgkmcnt(0)
	ds_write_b32 v0, v2
	s_trap 2
.LBB2_82:                               ;   in Loop: Header=BB2_70 Depth=2
	s_or_b64 exec, exec, s[20:21]
.LBB2_83:                               ;   in Loop: Header=BB2_70 Depth=2
	s_or_b64 exec, exec, s[74:75]
	s_and_saveexec_b64 s[20:21], s[8:9]
	s_cbranch_execz .LBB2_85
; %bb.84:                               ;   in Loop: Header=BB2_70 Depth=2
	buffer_load_dword v5, off, s[0:3], s32 offset:124 ; 4-byte Folded Reload
	v_and_b32_e32 v58, 0x7ffffff8, v15
	v_and_b32_e32 v2, 7, v15
	v_mad_u64_u32 v[2:3], s[74:75], v2, 24, v[13:14]
	v_cmp_eq_u64_e32 vcc, s[46:47], v[58:59]
	v_mov_b32_e32 v4, s23
	s_waitcnt vmcnt(0)
	v_cndmask_b32_e32 v4, v5, v4, vcc
	v_ashrrev_i32_e32 v5, 31, v4
	flat_store_dwordx2 v[2:3], v[4:5] offset:8
	s_waitcnt vmcnt(0)
.LBB2_85:                               ;   in Loop: Header=BB2_70 Depth=2
	s_or_b64 exec, exec, s[20:21]
	v_mov_b32_e32 v15, v17
	v_mov_b32_e32 v16, v18
.LBB2_86:                               ;   in Loop: Header=BB2_70 Depth=2
	s_or_b64 exec, exec, s[72:73]
	s_and_saveexec_b64 s[20:21], s[10:11]
	s_cbranch_execz .LBB2_105
; %bb.87:                               ;   in Loop: Header=BB2_70 Depth=2
	s_and_saveexec_b64 s[72:73], s[42:43]
	s_xor_b64 s[72:73], exec, s[72:73]
	s_cbranch_execz .LBB2_102
; %bb.88:                               ;   in Loop: Header=BB2_70 Depth=2
	s_and_saveexec_b64 s[74:75], s[12:13]
	s_cbranch_execz .LBB2_101
; %bb.89:                               ;   in Loop: Header=BB2_70 Depth=2
	s_mov_b64 s[78:79], exec
	v_mbcnt_lo_u32_b32 v2, s78, 0
	v_mbcnt_hi_u32_b32 v2, s79, v2
	v_cmp_eq_u32_e32 vcc, 0, v2
	s_waitcnt vmcnt(0) lgkmcnt(0)
	buffer_wbinvl1_vol
	s_and_saveexec_b64 s[76:77], vcc
	s_cbranch_execz .LBB2_91
; %bb.90:                               ;   in Loop: Header=BB2_70 Depth=2
	s_bcnt1_i32_b64 s28, s[78:79]
	v_mov_b32_e32 v58, s28
	ds_add_u64 v0, v[58:59]
	s_trap 2
.LBB2_91:                               ;   in Loop: Header=BB2_70 Depth=2
	s_or_b64 exec, exec, s[76:77]
	s_trap 2
	ds_read_b64 v[2:3], v0
	s_waitcnt lgkmcnt(0)
	buffer_load_dword v4, off, s[0:3], s32 offset:128 ; 4-byte Folded Reload
	s_waitcnt vmcnt(0)
	v_add_co_u32_e32 v40, vcc, v40, v4
	v_addc_co_u32_e32 v41, vcc, 0, v41, vcc
	v_cmp_lt_u64_e32 vcc, v[2:3], v[40:41]
	s_and_saveexec_b64 s[76:77], vcc
	s_cbranch_execz .LBB2_100
; %bb.92:                               ;   in Loop: Header=BB2_70 Depth=2
	s_mov_b32 s28, 0
	s_mov_b64 s[78:79], 0
                                        ; implicit-def: $sgpr88_sgpr89
                                        ; implicit-def: $sgpr90_sgpr91
	s_branch .LBB2_94
.LBB2_93:                               ;   in Loop: Header=BB2_94 Depth=3
	s_or_b64 exec, exec, s[94:95]
	s_and_b64 s[92:93], exec, vcc
	s_or_b64 s[78:79], s[92:93], s[78:79]
	s_andn2_b64 s[88:89], s[88:89], exec
	s_and_b64 s[92:93], s[90:91], exec
	s_or_b64 s[88:89], s[88:89], s[92:93]
	s_andn2_b64 exec, exec, s[78:79]
	s_cbranch_execz .LBB2_98
.LBB2_94:                               ;   Parent Loop BB2_21 Depth=1
                                        ;     Parent Loop BB2_70 Depth=2
                                        ; =>    This Inner Loop Header: Depth=3
	s_add_i32 s28, s28, 1
	s_cmpk_lg_i32 s28, 0x2710
	s_cselect_b64 s[92:93], -1, 0
	s_and_b64 vcc, exec, s[92:93]
	s_cbranch_vccz .LBB2_96
; %bb.95:                               ;   in Loop: Header=BB2_94 Depth=3
	s_mov_b64 vcc, -1
	s_or_b64 s[90:91], s[90:91], exec
	s_and_saveexec_b64 s[94:95], s[92:93]
	s_cbranch_execz .LBB2_93
	s_branch .LBB2_97
.LBB2_96:                               ;   in Loop: Header=BB2_94 Depth=3
	s_trap 2
	ds_read_b64 v[2:3], v0
	s_andn2_b64 s[92:93], s[92:93], exec
	s_mov_b32 s28, 0
	s_waitcnt lgkmcnt(0)
	flat_load_dword v2, v[2:3] glc
	s_waitcnt vmcnt(0) lgkmcnt(0)
	buffer_wbinvl1_vol
	v_cmp_eq_u32_e32 vcc, 0, v2
	s_and_b64 s[94:95], vcc, exec
	s_or_b64 s[92:93], s[92:93], s[94:95]
	s_mov_b64 vcc, -1
	s_or_b64 s[90:91], s[90:91], exec
	s_and_saveexec_b64 s[94:95], s[92:93]
	s_cbranch_execz .LBB2_93
.LBB2_97:                               ;   in Loop: Header=BB2_94 Depth=3
	s_sleep 1
	s_trap 2
	ds_read_b64 v[2:3], v0
	s_waitcnt lgkmcnt(0)
	s_andn2_b64 s[90:91], s[90:91], exec
	v_cmp_ge_u64_e32 vcc, v[2:3], v[40:41]
	s_orn2_b64 vcc, vcc, exec
	s_branch .LBB2_93
.LBB2_98:                               ;   in Loop: Header=BB2_70 Depth=2
	s_or_b64 exec, exec, s[78:79]
	s_and_saveexec_b64 s[78:79], s[88:89]
	s_xor_b64 s[78:79], exec, s[78:79]
	s_cbranch_execz .LBB2_100
; %bb.99:                               ;   in Loop: Header=BB2_70 Depth=2
	v_mov_b32_e32 v2, 1
	ds_write_b32 v0, v2
	s_trap 2
.LBB2_100:                              ;   in Loop: Header=BB2_70 Depth=2
	s_or_b64 exec, exec, s[76:77]
	;;#ASMSTART
	s_wakeup
	;;#ASMEND
.LBB2_101:                              ;   in Loop: Header=BB2_70 Depth=2
	s_or_b64 exec, exec, s[74:75]
.LBB2_102:                              ;   in Loop: Header=BB2_70 Depth=2
	s_andn2_saveexec_b64 s[72:73], s[72:73]
	s_cbranch_execz .LBB2_104
; %bb.103:                              ;   in Loop: Header=BB2_70 Depth=2
	s_waitcnt vmcnt(0) lgkmcnt(0)
	buffer_wbinvl1_vol
	s_barrier
.LBB2_104:                              ;   in Loop: Header=BB2_70 Depth=2
	s_or_b64 exec, exec, s[72:73]
.LBB2_105:                              ;   in Loop: Header=BB2_70 Depth=2
	s_or_b64 exec, exec, s[20:21]
	buffer_load_dword v4, off, s[0:3], s32 offset:60 ; 4-byte Folded Reload
	buffer_load_dword v5, off, s[0:3], s32 offset:64 ; 4-byte Folded Reload
	v_add_u32_e32 v18, 1, v46
	s_and_saveexec_b64 s[72:73], s[18:19]
	s_cbranch_execnz .LBB2_112
; %bb.106:                              ;   in Loop: Header=BB2_70 Depth=2
	s_or_b64 exec, exec, s[72:73]
	s_and_saveexec_b64 s[20:21], s[10:11]
	s_cbranch_execnz .LBB2_579
.LBB2_107:                              ;   in Loop: Header=BB2_70 Depth=2
	s_or_b64 exec, exec, s[20:21]
	s_and_saveexec_b64 s[20:21], s[16:17]
	s_cbranch_execz .LBB2_109
.LBB2_108:                              ;   in Loop: Header=BB2_70 Depth=2
	buffer_load_dword v2, off, s[0:3], s32 offset:92 ; 4-byte Folded Reload
	buffer_load_dword v3, off, s[0:3], s32 offset:96 ; 4-byte Folded Reload
	s_waitcnt vmcnt(0)
	v_add_co_u32_e32 v60, vcc, 1, v60
	v_addc_co_u32_e32 v61, vcc, 0, v61, vcc
	flat_store_dwordx2 v[2:3], v[60:61]
.LBB2_109:                              ;   in Loop: Header=BB2_70 Depth=2
	s_or_b64 exec, exec, s[20:21]
	v_and_b32_e32 v58, 0x7ffffff8, v46
	v_cmp_eq_u64_e32 vcc, s[46:47], v[58:59]
	s_waitcnt vmcnt(0)
	v_cmp_gt_i32_e64 s[20:21], s38, v4
	s_and_b64 s[20:21], vcc, s[20:21]
	s_and_saveexec_b64 s[72:73], s[20:21]
	s_cbranch_execz .LBB2_69
; %bb.110:                              ;   in Loop: Header=BB2_70 Depth=2
	s_waitcnt lgkmcnt(0)
	v_and_b32_e32 v0, 7, v7
	v_mul_lo_u32 v2, s38, v0
	v_ashrrev_i32_e32 v5, 31, v4
	v_lshlrev_b64 v[5:6], 4, v[4:5]
	v_mov_b32_e32 v17, v59
	v_ashrrev_i32_e32 v3, 31, v2
	v_lshlrev_b64 v[2:3], 4, v[2:3]
	s_mov_b64 s[74:75], 0
	v_add_co_u32_e32 v0, vcc, v5, v2
	v_addc_co_u32_e32 v3, vcc, v6, v3, vcc
	buffer_load_dword v5, off, s[0:3], s32 offset:68 ; 4-byte Folded Reload
	buffer_load_dword v6, off, s[0:3], s32 offset:72 ; 4-byte Folded Reload
	s_waitcnt vmcnt(1)
	v_add_co_u32_e32 v2, vcc, v5, v0
	s_waitcnt vmcnt(0)
	v_addc_co_u32_e32 v3, vcc, v6, v3, vcc
.LBB2_111:                              ;   Parent Loop BB2_21 Depth=1
                                        ;     Parent Loop BB2_70 Depth=2
                                        ; =>    This Inner Loop Header: Depth=3
	v_mov_b32_e32 v19, v17
	v_mov_b32_e32 v20, v18
	v_add_u32_e32 v4, v4, v1
	global_store_dwordx4 v[2:3], v[17:20], off
	v_add_co_u32_e32 v2, vcc, v2, v11
	v_cmp_le_i32_e64 s[20:21], s38, v4
	s_or_b64 s[74:75], s[20:21], s[74:75]
	v_addc_co_u32_e32 v3, vcc, v3, v12, vcc
	s_andn2_b64 exec, exec, s[74:75]
	s_cbranch_execnz .LBB2_111
	s_branch .LBB2_69
.LBB2_112:                              ;   in Loop: Header=BB2_70 Depth=2
	buffer_store_dword v60, off, s[0:3], s32 offset:76 ; 4-byte Folded Spill
	s_nop 0
	buffer_store_dword v61, off, s[0:3], s32 offset:80 ; 4-byte Folded Spill
	buffer_load_dword v3, off, s[0:3], s32 offset:84 ; 4-byte Folded Reload
	buffer_load_dword v4, off, s[0:3], s32 offset:108 ; 4-byte Folded Reload
	;; [unrolled: 1-line block ×3, first 2 shown]
	s_waitcnt vmcnt(0) lgkmcnt(0)
	v_ashrrev_i32_e32 v2, 31, v0
	v_add_u32_e32 v44, 1, v34
	s_mov_b64 s[74:75], 0
	v_mov_b32_e32 v10, v42
	v_mad_u64_u32 v[60:61], s[20:21], v3, v0, v[4:5]
	buffer_load_dword v4, off, s[0:3], s32 offset:88 ; 4-byte Folded Reload
	buffer_load_dword v5, off, s[0:3], s32 offset:100 ; 4-byte Folded Reload
	;; [unrolled: 1-line block ×3, first 2 shown]
	v_mul_lo_u32 v3, v3, v2
	v_and_b32_e32 v2, 7, v34
	v_mul_lo_u32 v2, v2, s38
	s_waitcnt vmcnt(2)
	v_mul_lo_u32 v0, v4, v0
	v_add3_u32 v61, v0, v61, v3
	v_and_b32_e32 v0, 7, v46
	v_mul_lo_u32 v4, v0, s38
	v_ashrrev_i32_e32 v3, 31, v2
	v_lshlrev_b64 v[2:3], 4, v[2:3]
	s_waitcnt vmcnt(1)
	v_add_co_u32_e32 v32, vcc, v5, v2
	v_ashrrev_i32_e32 v5, 31, v4
	s_waitcnt vmcnt(0)
	v_addc_co_u32_e32 v33, vcc, v6, v3, vcc
	v_lshlrev_b64 v[2:3], 4, v[4:5]
	buffer_load_dword v4, off, s[0:3], s32 offset:68 ; 4-byte Folded Reload
	buffer_load_dword v5, off, s[0:3], s32 offset:72 ; 4-byte Folded Reload
	s_waitcnt vmcnt(1)
	v_add_co_u32_e32 v45, vcc, v4, v2
	s_waitcnt vmcnt(0)
	v_addc_co_u32_e32 v62, vcc, v5, v3, vcc
	buffer_load_dword v4, off, s[0:3], s32 offset:60 ; 4-byte Folded Reload
	buffer_load_dword v5, off, s[0:3], s32 offset:64 ; 4-byte Folded Reload
	s_branch .LBB2_115
.LBB2_113:                              ;   in Loop: Header=BB2_115 Depth=3
	s_or_b64 exec, exec, s[76:77]
.LBB2_114:                              ;   in Loop: Header=BB2_115 Depth=3
	s_or_b64 exec, exec, s[20:21]
	v_add_co_u32_e32 v60, vcc, v60, v26
	v_lshlrev_b32_e32 v0, 8, v57
	v_lshlrev_b32_e32 v2, 16, v23
	v_addc_co_u32_e32 v61, vcc, 0, v61, vcc
	v_or3_b32 v0, v0, v56, v2
	v_lshlrev_b32_e32 v2, 8, v19
	v_lshlrev_b32_e32 v6, 24, v3
	;; [unrolled: 1-line block ×3, first 2 shown]
	v_or3_b32 v19, v2, v22, v3
	v_add_co_u32_e32 v2, vcc, v45, v29
	v_addc_co_u32_e32 v3, vcc, v62, v30, vcc
	v_sub_u32_e32 v10, v10, v26
	v_lshlrev_b32_e32 v5, 24, v37
	v_cmp_gt_i32_e32 vcc, 1, v10
	v_or3_b32 v17, v0, v5, 0
	v_or3_b32 v19, v19, v6, 0
	v_mov_b32_e32 v20, v18
	s_or_b64 s[74:75], vcc, s[74:75]
	v_add_u32_e32 v4, v4, v1
	global_store_dwordx4 v[2:3], v[17:20], off
	s_andn2_b64 exec, exec, s[74:75]
	s_cbranch_execz .LBB2_578
.LBB2_115:                              ;   Parent Loop BB2_21 Depth=1
                                        ;     Parent Loop BB2_70 Depth=2
                                        ; =>    This Loop Header: Depth=3
                                        ;         Child Loop BB2_123 Depth 4
	v_and_b32_e32 v2, -4, v60
	v_mov_b32_e32 v3, v61
	global_load_dword v0, v[2:3], off glc slc
	s_waitcnt vmcnt(1)
	v_min_u32_e32 v5, 8, v10
	v_and_b32_e32 v6, 3, v60
	v_add_u32_e32 v58, v6, v5
	v_cmp_lt_u32_e32 vcc, 4, v58
	v_mov_b32_e32 v24, 0
	v_mov_b32_e32 v36, 0
	s_and_saveexec_b64 s[20:21], vcc
	s_cbranch_execz .LBB2_117
; %bb.116:                              ;   in Loop: Header=BB2_115 Depth=3
	global_load_dword v36, v[2:3], off offset:4 glc slc
.LBB2_117:                              ;   in Loop: Header=BB2_115 Depth=3
	s_or_b64 exec, exec, s[20:21]
	v_cmp_lt_u64_e32 vcc, 8, v[58:59]
	s_and_saveexec_b64 s[20:21], vcc
	s_cbranch_execz .LBB2_119
; %bb.118:                              ;   in Loop: Header=BB2_115 Depth=3
	global_load_dword v24, v[2:3], off offset:8 glc slc
.LBB2_119:                              ;   in Loop: Header=BB2_115 Depth=3
	s_or_b64 exec, exec, s[20:21]
	v_mov_b32_e32 v5, v59
	v_lshlrev_b64 v[29:30], 4, v[4:5]
	v_add_co_u32_e32 v27, vcc, v32, v29
	v_addc_co_u32_e32 v28, vcc, v33, v30, vcc
	global_load_dwordx4 v[19:22], v[27:28], off glc slc
	v_cmp_eq_u32_e32 vcc, 0, v9
	v_mov_b32_e32 v9, 1
	s_and_saveexec_b64 s[76:77], vcc
	s_cbranch_execz .LBB2_131
; %bb.120:                              ;   in Loop: Header=BB2_115 Depth=3
	s_waitcnt vmcnt(0)
	v_cmp_ne_u32_e32 vcc, v44, v20
	v_cmp_ne_u32_e64 s[20:21], v44, v22
	s_or_b64 s[20:21], vcc, s[20:21]
	v_mov_b32_e32 v9, 0
	s_and_saveexec_b64 s[78:79], s[20:21]
	s_cbranch_execz .LBB2_130
; %bb.121:                              ;   in Loop: Header=BB2_115 Depth=3
	s_mov_b32 s28, 1
	s_mov_b64 s[90:91], 0
                                        ; implicit-def: $sgpr88_sgpr89
                                        ; implicit-def: $sgpr92_sgpr93
	s_branch .LBB2_123
.LBB2_122:                              ;   in Loop: Header=BB2_123 Depth=4
	s_or_b64 exec, exec, s[30:31]
	s_and_b64 s[20:21], exec, s[20:21]
	s_or_b64 s[90:91], s[20:21], s[90:91]
	s_andn2_b64 s[20:21], s[88:89], exec
	s_and_b64 s[88:89], s[92:93], exec
	s_or_b64 s[88:89], s[20:21], s[88:89]
	s_andn2_b64 exec, exec, s[90:91]
	s_cbranch_execz .LBB2_127
.LBB2_123:                              ;   Parent Loop BB2_21 Depth=1
                                        ;     Parent Loop BB2_70 Depth=2
                                        ;       Parent Loop BB2_115 Depth=3
                                        ; =>      This Inner Loop Header: Depth=4
	global_load_dwordx4 v[19:22], v[27:28], off glc slc
	s_add_i32 s28, s28, 1
	s_mov_b64 s[20:21], -1
	s_cmpk_lg_i32 s28, 0x2710
	s_mov_b64 s[94:95], -1
                                        ; implicit-def: $vgpr2
	s_cbranch_scc0 .LBB2_125
; %bb.124:                              ;   in Loop: Header=BB2_123 Depth=4
	s_or_b64 s[92:93], s[92:93], exec
	s_and_saveexec_b64 s[30:31], s[94:95]
	s_cbranch_execz .LBB2_122
	s_branch .LBB2_126
.LBB2_125:                              ;   in Loop: Header=BB2_123 Depth=4
	s_trap 2
	ds_read_b64 v[2:3], v0
	s_mov_b32 s28, 0
	s_waitcnt vmcnt(0) lgkmcnt(0)
	flat_load_dword v2, v[2:3] glc
	s_waitcnt vmcnt(0) lgkmcnt(0)
	buffer_wbinvl1_vol
	v_cmp_eq_u32_e32 vcc, 0, v2
	s_orn2_b64 s[94:95], vcc, exec
	s_or_b64 s[92:93], s[92:93], exec
	s_and_saveexec_b64 s[30:31], s[94:95]
	s_cbranch_execz .LBB2_122
.LBB2_126:                              ;   in Loop: Header=BB2_123 Depth=4
	s_waitcnt vmcnt(0)
	v_cmp_eq_u32_e32 vcc, v44, v20
	v_cmp_eq_u32_e64 s[20:21], v44, v22
	s_and_b64 s[20:21], vcc, s[20:21]
	s_andn2_b64 s[92:93], s[92:93], exec
	s_orn2_b64 s[20:21], s[20:21], exec
	s_branch .LBB2_122
.LBB2_127:                              ;   in Loop: Header=BB2_115 Depth=3
	s_or_b64 exec, exec, s[90:91]
	v_mov_b32_e32 v9, 0
	s_and_saveexec_b64 s[20:21], s[88:89]
	s_xor_b64 s[20:21], exec, s[20:21]
	s_cbranch_execz .LBB2_129
; %bb.128:                              ;   in Loop: Header=BB2_115 Depth=3
	v_mov_b32_e32 v9, 1
	ds_write_b32 v0, v2
	s_trap 2
.LBB2_129:                              ;   in Loop: Header=BB2_115 Depth=3
	s_or_b64 exec, exec, s[20:21]
.LBB2_130:                              ;   in Loop: Header=BB2_115 Depth=3
	s_or_b64 exec, exec, s[78:79]
.LBB2_131:                              ;   in Loop: Header=BB2_115 Depth=3
	s_or_b64 exec, exec, s[76:77]
	v_lshlrev_b32_e32 v38, 3, v60
	s_waitcnt vmcnt(1)
	v_alignbit_b32 v58, v36, v0, v38
	s_waitcnt vmcnt(0)
	v_cmp_ne_u16_sdwa s[20:21], v19, v59 src0_sel:BYTE_0 src1_sel:DWORD
                                        ; implicit-def: $vgpr5
	s_and_saveexec_b64 s[76:77], s[14:15]
	s_xor_b64 s[76:77], exec, s[76:77]
	s_cbranch_execz .LBB2_149
; %bb.132:                              ;   in Loop: Header=BB2_115 Depth=3
	v_mov_b32_e32 v2, 0
	v_mov_b32_e32 v0, 0
	s_and_saveexec_b64 s[78:79], s[20:21]
	s_cbranch_execz .LBB2_140
; %bb.133:                              ;   in Loop: Header=BB2_115 Depth=3
	v_cmp_ne_u16_sdwa s[90:91], sext(v19), s48 src0_sel:BYTE_0 src1_sel:DWORD
	v_bfrev_b32_e32 v0, 1
	s_and_saveexec_b64 s[88:89], s[90:91]
	s_cbranch_execz .LBB2_139
; %bb.134:                              ;   in Loop: Header=BB2_115 Depth=3
	v_and_b32_e32 v0, 0x7c, v19
	v_and_b32_e32 v3, 3, v19
	v_cmp_ne_u32_e32 vcc, s49, v0
                                        ; implicit-def: $vgpr0
	s_and_saveexec_b64 s[90:91], vcc
	s_xor_b64 s[90:91], exec, s[90:91]
	s_cbranch_execz .LBB2_136
; %bb.135:                              ;   in Loop: Header=BB2_115 Depth=3
	v_ffbh_u32_e32 v5, v3
	v_min_u32_e32 v17, 32, v5
	v_subrev_u32_e32 v5, 29, v17
	v_lshlrev_b64 v[5:6], v5, v[19:20]
	v_bfe_u32 v0, v19, 2, 5
	v_and_b32_e32 v5, 3, v5
	v_cmp_eq_u32_e32 vcc, 0, v0
	v_sub_u32_e32 v6, 30, v17
	v_cndmask_b32_e32 v3, v3, v5, vcc
	v_lshlrev_b32_e32 v5, 24, v19
	v_cndmask_b32_e32 v0, v0, v6, vcc
	v_and_b32_e32 v5, 0x80000000, v5
	v_lshl_add_u32 v0, v0, 23, v5
	v_lshl_or_b32 v0, v3, 21, v0
	v_add_u32_e32 v0, 0x38000000, v0
                                        ; implicit-def: $vgpr3
.LBB2_136:                              ;   in Loop: Header=BB2_115 Depth=3
	s_andn2_saveexec_b64 s[90:91], s[90:91]
; %bb.137:                              ;   in Loop: Header=BB2_115 Depth=3
	v_cmp_gt_i16_sdwa vcc, sext(v19), v43 src0_sel:BYTE_0 src1_sel:DWORD
	v_cndmask_b32_e32 v0, v8, v54, vcc
	v_cmp_eq_u32_e32 vcc, 0, v3
	v_cndmask_b32_e32 v0, v55, v0, vcc
; %bb.138:                              ;   in Loop: Header=BB2_115 Depth=3
	s_or_b64 exec, exec, s[90:91]
.LBB2_139:                              ;   in Loop: Header=BB2_115 Depth=3
	s_or_b64 exec, exec, s[88:89]
.LBB2_140:                              ;   in Loop: Header=BB2_115 Depth=3
	s_or_b64 exec, exec, s[78:79]
	v_cmp_ne_u16_sdwa s[88:89], sext(v58), v59 src0_sel:BYTE_0 src1_sel:DWORD
	s_and_saveexec_b64 s[78:79], s[88:89]
	s_cbranch_execz .LBB2_148
; %bb.141:                              ;   in Loop: Header=BB2_115 Depth=3
	v_cmp_ne_u16_sdwa s[90:91], sext(v58), s48 src0_sel:BYTE_0 src1_sel:DWORD
	v_bfrev_b32_e32 v2, 1
	s_and_saveexec_b64 s[88:89], s[90:91]
	s_cbranch_execz .LBB2_147
; %bb.142:                              ;   in Loop: Header=BB2_115 Depth=3
	v_and_b32_e32 v2, 0x7c, v58
	v_and_b32_e32 v3, 3, v58
	v_cmp_ne_u32_e32 vcc, s49, v2
                                        ; implicit-def: $vgpr2
	s_and_saveexec_b64 s[90:91], vcc
	s_xor_b64 s[90:91], exec, s[90:91]
	s_cbranch_execz .LBB2_144
; %bb.143:                              ;   in Loop: Header=BB2_115 Depth=3
	v_ffbh_u32_e32 v5, v3
	v_min_u32_e32 v17, 32, v5
	v_subrev_u32_e32 v5, 29, v17
	v_lshlrev_b64 v[5:6], v5, v[58:59]
	v_bfe_u32 v2, v58, 2, 5
	v_and_b32_e32 v5, 3, v5
	v_cmp_eq_u32_e32 vcc, 0, v2
	v_sub_u32_e32 v6, 30, v17
	v_cndmask_b32_e32 v3, v3, v5, vcc
	v_lshlrev_b32_e32 v5, 24, v58
	v_cndmask_b32_e32 v2, v2, v6, vcc
	v_and_b32_e32 v5, 0x80000000, v5
	v_lshl_add_u32 v2, v2, 23, v5
	v_lshl_or_b32 v2, v3, 21, v2
	v_add_u32_e32 v2, 0x38000000, v2
                                        ; implicit-def: $vgpr3
.LBB2_144:                              ;   in Loop: Header=BB2_115 Depth=3
	s_andn2_saveexec_b64 s[90:91], s[90:91]
; %bb.145:                              ;   in Loop: Header=BB2_115 Depth=3
	v_cmp_gt_i16_sdwa vcc, sext(v58), v43 src0_sel:BYTE_0 src1_sel:DWORD
	v_cndmask_b32_e32 v2, v8, v54, vcc
	v_cmp_eq_u32_e32 vcc, 0, v3
	v_cndmask_b32_e32 v2, v55, v2, vcc
; %bb.146:                              ;   in Loop: Header=BB2_115 Depth=3
	s_or_b64 exec, exec, s[90:91]
.LBB2_147:                              ;   in Loop: Header=BB2_115 Depth=3
	s_or_b64 exec, exec, s[88:89]
.LBB2_148:                              ;   in Loop: Header=BB2_115 Depth=3
	s_or_b64 exec, exec, s[78:79]
	v_max_f32_e32 v2, v2, v2
	v_max_f32_e32 v0, v0, v0
	;; [unrolled: 1-line block ×3, first 2 shown]
.LBB2_149:                              ;   in Loop: Header=BB2_115 Depth=3
	s_andn2_saveexec_b64 s[76:77], s[76:77]
	s_cbranch_execz .LBB2_167
; %bb.150:                              ;   in Loop: Header=BB2_115 Depth=3
	v_mov_b32_e32 v2, 0
	v_mov_b32_e32 v0, 0
	s_and_saveexec_b64 s[78:79], s[20:21]
	s_cbranch_execz .LBB2_158
; %bb.151:                              ;   in Loop: Header=BB2_115 Depth=3
	v_cmp_ne_u16_sdwa s[88:89], sext(v19), s48 src0_sel:BYTE_0 src1_sel:DWORD
	v_bfrev_b32_e32 v0, 1
	s_and_saveexec_b64 s[20:21], s[88:89]
	s_cbranch_execz .LBB2_157
; %bb.152:                              ;   in Loop: Header=BB2_115 Depth=3
	v_and_b32_e32 v0, 0x7c, v19
	v_and_b32_e32 v3, 3, v19
	v_cmp_ne_u32_e32 vcc, s49, v0
                                        ; implicit-def: $vgpr0
	s_and_saveexec_b64 s[88:89], vcc
	s_xor_b64 s[88:89], exec, s[88:89]
	s_cbranch_execz .LBB2_154
; %bb.153:                              ;   in Loop: Header=BB2_115 Depth=3
	v_ffbh_u32_e32 v5, v3
	v_min_u32_e32 v17, 32, v5
	v_subrev_u32_e32 v5, 29, v17
	v_lshlrev_b64 v[5:6], v5, v[19:20]
	v_bfe_u32 v0, v19, 2, 5
	v_and_b32_e32 v5, 3, v5
	v_cmp_eq_u32_e32 vcc, 0, v0
	v_sub_u32_e32 v6, 30, v17
	v_cndmask_b32_e32 v3, v3, v5, vcc
	v_lshlrev_b32_e32 v5, 24, v19
	v_cndmask_b32_e32 v0, v0, v6, vcc
	v_and_b32_e32 v5, 0x80000000, v5
	v_lshl_add_u32 v0, v0, 23, v5
	v_lshl_or_b32 v0, v3, 21, v0
	v_add_u32_e32 v0, 0x38000000, v0
                                        ; implicit-def: $vgpr3
.LBB2_154:                              ;   in Loop: Header=BB2_115 Depth=3
	s_andn2_saveexec_b64 s[88:89], s[88:89]
; %bb.155:                              ;   in Loop: Header=BB2_115 Depth=3
	v_cmp_gt_i16_sdwa vcc, sext(v19), v43 src0_sel:BYTE_0 src1_sel:DWORD
	v_cndmask_b32_e32 v0, v8, v54, vcc
	v_cmp_eq_u32_e32 vcc, 0, v3
	v_cndmask_b32_e32 v0, v55, v0, vcc
; %bb.156:                              ;   in Loop: Header=BB2_115 Depth=3
	s_or_b64 exec, exec, s[88:89]
.LBB2_157:                              ;   in Loop: Header=BB2_115 Depth=3
	s_or_b64 exec, exec, s[20:21]
.LBB2_158:                              ;   in Loop: Header=BB2_115 Depth=3
	s_or_b64 exec, exec, s[78:79]
	v_cmp_ne_u16_sdwa s[78:79], sext(v58), v59 src0_sel:BYTE_0 src1_sel:DWORD
	s_and_saveexec_b64 s[20:21], s[78:79]
	s_cbranch_execz .LBB2_166
; %bb.159:                              ;   in Loop: Header=BB2_115 Depth=3
	v_cmp_ne_u16_sdwa s[88:89], sext(v58), s48 src0_sel:BYTE_0 src1_sel:DWORD
	v_bfrev_b32_e32 v2, 1
	s_and_saveexec_b64 s[78:79], s[88:89]
	s_cbranch_execz .LBB2_165
; %bb.160:                              ;   in Loop: Header=BB2_115 Depth=3
	v_and_b32_e32 v2, 0x7c, v58
	v_and_b32_e32 v3, 3, v58
	v_cmp_ne_u32_e32 vcc, s49, v2
                                        ; implicit-def: $vgpr2
	s_and_saveexec_b64 s[88:89], vcc
	s_xor_b64 s[88:89], exec, s[88:89]
	s_cbranch_execz .LBB2_162
; %bb.161:                              ;   in Loop: Header=BB2_115 Depth=3
	v_ffbh_u32_e32 v5, v3
	v_min_u32_e32 v17, 32, v5
	v_subrev_u32_e32 v5, 29, v17
	v_lshlrev_b64 v[5:6], v5, v[58:59]
	v_bfe_u32 v2, v58, 2, 5
	v_and_b32_e32 v5, 3, v5
	v_cmp_eq_u32_e32 vcc, 0, v2
	v_sub_u32_e32 v6, 30, v17
	v_cndmask_b32_e32 v3, v3, v5, vcc
	v_lshlrev_b32_e32 v5, 24, v58
	v_cndmask_b32_e32 v2, v2, v6, vcc
	v_and_b32_e32 v5, 0x80000000, v5
	v_lshl_add_u32 v2, v2, 23, v5
	v_lshl_or_b32 v2, v3, 21, v2
	v_add_u32_e32 v2, 0x38000000, v2
                                        ; implicit-def: $vgpr3
.LBB2_162:                              ;   in Loop: Header=BB2_115 Depth=3
	s_andn2_saveexec_b64 s[88:89], s[88:89]
; %bb.163:                              ;   in Loop: Header=BB2_115 Depth=3
	v_cmp_gt_i16_sdwa vcc, sext(v58), v43 src0_sel:BYTE_0 src1_sel:DWORD
	v_cndmask_b32_e32 v2, v8, v54, vcc
	v_cmp_eq_u32_e32 vcc, 0, v3
	v_cndmask_b32_e32 v2, v55, v2, vcc
; %bb.164:                              ;   in Loop: Header=BB2_115 Depth=3
	s_or_b64 exec, exec, s[88:89]
.LBB2_165:                              ;   in Loop: Header=BB2_115 Depth=3
	s_or_b64 exec, exec, s[78:79]
.LBB2_166:                              ;   in Loop: Header=BB2_115 Depth=3
	s_or_b64 exec, exec, s[20:21]
	v_max_f32_e32 v2, v2, v2
	v_max_f32_e32 v0, v0, v0
	v_min_f32_e32 v5, v0, v2
.LBB2_167:                              ;   in Loop: Header=BB2_115 Depth=3
	s_or_b64 exec, exec, s[76:77]
	v_and_b32_e32 v27, 0x7f800000, v5
	v_mov_b32_e32 v28, v59
	v_cmp_ne_u64_e32 vcc, s[58:59], v[27:28]
	v_and_b32_e32 v2, 0x7fffff, v5
	v_mov_b32_e32 v3, v59
                                        ; implicit-def: $vgpr56
	s_and_saveexec_b64 s[20:21], vcc
	s_xor_b64 s[76:77], exec, s[20:21]
	s_cbranch_execz .LBB2_181
; %bb.168:                              ;   in Loop: Header=BB2_115 Depth=3
	v_and_b32_e32 v27, 0x7fffffff, v5
	v_mov_b32_e32 v28, v59
	v_cmp_gt_u64_e32 vcc, s[60:61], v[27:28]
	v_and_b32_sdwa v0, v5, s50 dst_sel:DWORD dst_unused:UNUSED_PAD src0_sel:BYTE_3 src1_sel:DWORD
                                        ; implicit-def: $vgpr56
	s_and_saveexec_b64 s[20:21], vcc
	s_xor_b64 s[78:79], exec, s[20:21]
	s_cbranch_execz .LBB2_178
; %bb.169:                              ;   in Loop: Header=BB2_115 Depth=3
	v_mov_b32_e32 v56, 0
	v_cmp_ne_u32_e32 vcc, 0, v5
	s_and_saveexec_b64 s[88:89], vcc
	s_cbranch_execz .LBB2_177
; %bb.170:                              ;   in Loop: Header=BB2_115 Depth=3
	v_bfe_u32 v17, v5, 23, 8
	v_cmp_gt_u32_e64 s[20:21], s51, v17
	v_sub_u32_e32 v5, 0x71, v17
	v_cmp_eq_u32_e32 vcc, 0, v17
	v_cndmask_b32_e64 v5, 0, v5, s[20:21]
	v_cndmask_b32_e32 v20, v5, v25, vcc
	v_or_b32_e32 v6, 0x800000, v2
	v_add_u32_e32 v5, 21, v20
	v_cndmask_b32_e32 v2, v6, v2, vcc
	v_lshlrev_b64 v[5:6], v5, -1
	v_add_u32_e32 v23, 20, v20
	v_bfi_b32 v5, v5, 0, v2
	v_lshlrev_b64 v[27:28], v23, 1
	v_lshrrev_b64 v[2:3], v20, v[2:3]
	v_bfi_b32 v6, v6, 0, 0
	v_cmp_eq_u64_e64 s[20:21], v[5:6], v[27:28]
	v_mov_b32_e32 v6, v3
	v_mov_b32_e32 v5, v2
	s_and_saveexec_b64 s[90:91], s[20:21]
; %bb.171:                              ;   in Loop: Header=BB2_115 Depth=3
	v_bfe_u32 v3, v2, 21, 1
	v_add_co_u32_e64 v3, s[20:21], v2, v3
	v_add_co_u32_e64 v5, s[20:21], -1, v3
; %bb.172:                              ;   in Loop: Header=BB2_115 Depth=3
	s_or_b64 exec, exec, s[90:91]
	v_add_u32_e32 v3, 0xffffff81, v17
	v_cndmask_b32_e32 v3, v3, v48, vcc
	v_lshrrev_b32_e32 v6, 23, v2
	v_add3_u32 v17, v20, v3, v6
	v_add_u32_e32 v6, 14, v17
	v_and_b32_e32 v3, 0x1fffff, v5
	v_add_u32_e32 v2, v3, v2
	v_mov_b32_e32 v3, v59
	v_cmp_ne_u32_e32 vcc, 0, v6
                                        ; implicit-def: $vgpr5
	s_and_saveexec_b64 s[20:21], vcc
	s_xor_b64 s[20:21], exec, s[20:21]
; %bb.173:                              ;   in Loop: Header=BB2_115 Depth=3
	v_cmp_lt_u64_e32 vcc, s[62:63], v[2:3]
	v_add_u32_e32 v5, 15, v17
	v_cndmask_b32_e32 v5, v6, v5, vcc
	v_cndmask_b32_e64 v6, 0, 1, vcc
	v_lshrrev_b64 v[2:3], v6, v[2:3]
; %bb.174:                              ;   in Loop: Header=BB2_115 Depth=3
	s_andn2_saveexec_b64 s[20:21], s[20:21]
; %bb.175:                              ;   in Loop: Header=BB2_115 Depth=3
	v_bfe_u32 v5, v2, 23, 1
; %bb.176:                              ;   in Loop: Header=BB2_115 Depth=3
	s_or_b64 exec, exec, s[20:21]
	v_lshrrev_b64 v[2:3], 21, v[2:3]
	v_cmp_gt_i32_e32 vcc, 32, v5
	v_cndmask_b32_e32 v3, 0, v3, vcc
	v_cndmask_b32_e32 v2, 3, v2, vcc
	v_cmp_eq_u64_e64 s[20:21], 0, v[2:3]
	v_min_i32_e32 v3, 31, v5
	v_lshlrev_b32_e32 v3, 2, v3
	v_cmp_eq_u32_e32 vcc, 0, v5
	v_and_b32_e32 v3, 0xfc, v3
	v_and_or_b32 v2, v2, 3, v3
	s_and_b64 s[20:21], vcc, s[20:21]
	v_cndmask_b32_e64 v2, v2, 0, s[20:21]
	v_or_b32_e32 v56, v2, v0
.LBB2_177:                              ;   in Loop: Header=BB2_115 Depth=3
	s_or_b64 exec, exec, s[88:89]
                                        ; implicit-def: $vgpr0
.LBB2_178:                              ;   in Loop: Header=BB2_115 Depth=3
	s_andn2_saveexec_b64 s[20:21], s[78:79]
; %bb.179:                              ;   in Loop: Header=BB2_115 Depth=3
	v_or_b32_e32 v56, 0x7b, v0
; %bb.180:                              ;   in Loop: Header=BB2_115 Depth=3
	s_or_b64 exec, exec, s[20:21]
                                        ; implicit-def: $vgpr5
                                        ; implicit-def: $vgpr2_vgpr3
.LBB2_181:                              ;   in Loop: Header=BB2_115 Depth=3
	s_andn2_saveexec_b64 s[20:21], s[76:77]
	s_cbranch_execz .LBB2_187
; %bb.182:                              ;   in Loop: Header=BB2_115 Depth=3
	v_cmp_ne_u64_e32 vcc, 0, v[2:3]
                                        ; implicit-def: $vgpr56
	s_and_saveexec_b64 s[76:77], vcc
	s_xor_b64 s[76:77], exec, s[76:77]
; %bb.183:                              ;   in Loop: Header=BB2_115 Depth=3
	v_or_b32_sdwa v56, v5, s52 dst_sel:DWORD dst_unused:UNUSED_PAD src0_sel:BYTE_3 src1_sel:DWORD
                                        ; implicit-def: $vgpr5
; %bb.184:                              ;   in Loop: Header=BB2_115 Depth=3
	s_andn2_saveexec_b64 s[76:77], s[76:77]
; %bb.185:                              ;   in Loop: Header=BB2_115 Depth=3
	v_cmp_lt_i32_e32 vcc, -1, v5
	v_cndmask_b32_e32 v56, v49, v31, vcc
; %bb.186:                              ;   in Loop: Header=BB2_115 Depth=3
	s_or_b64 exec, exec, s[76:77]
.LBB2_187:                              ;   in Loop: Header=BB2_115 Depth=3
	s_or_b64 exec, exec, s[20:21]
	v_lshrrev_b16_e32 v2, 8, v19
	v_lshrrev_b16_e32 v27, 8, v58
	v_cmp_ne_u16_e32 vcc, 0, v2
                                        ; implicit-def: $vgpr5
	s_and_saveexec_b64 s[20:21], s[14:15]
	s_xor_b64 s[76:77], exec, s[20:21]
	s_cbranch_execz .LBB2_205
; %bb.188:                              ;   in Loop: Header=BB2_115 Depth=3
	v_mov_b32_e32 v5, 0
	v_mov_b32_e32 v0, 0
	s_and_saveexec_b64 s[78:79], vcc
	s_cbranch_execz .LBB2_196
; %bb.189:                              ;   in Loop: Header=BB2_115 Depth=3
	v_cmp_ne_u16_e64 s[20:21], s50, v2
	v_bfrev_b32_e32 v0, 1
	s_and_saveexec_b64 s[88:89], s[20:21]
	s_cbranch_execz .LBB2_195
; %bb.190:                              ;   in Loop: Header=BB2_115 Depth=3
	v_and_b32_e32 v0, 0x7c, v2
	v_and_b32_e32 v6, 3, v2
	v_cmp_ne_u32_e64 s[20:21], s49, v0
                                        ; implicit-def: $vgpr0
	s_and_saveexec_b64 s[90:91], s[20:21]
	s_xor_b64 s[90:91], exec, s[90:91]
	s_cbranch_execz .LBB2_192
; %bb.191:                              ;   in Loop: Header=BB2_115 Depth=3
	v_ffbh_u32_e32 v17, v6
	v_min_u32_e32 v17, 32, v17
	v_mov_b32_e32 v3, v59
	v_subrev_u32_e32 v20, 29, v17
	v_bfe_u32 v0, v2, 2, 5
	v_lshlrev_b64 v[2:3], v20, v[2:3]
	v_sub_u32_e32 v3, 30, v17
	v_cmp_eq_u32_e64 s[20:21], 0, v0
	v_cndmask_b32_e64 v0, v0, v3, s[20:21]
	v_lshlrev_b32_e32 v3, 16, v19
	v_and_b32_e32 v2, 3, v2
	v_and_b32_e32 v3, 0x80000000, v3
	v_cndmask_b32_e64 v2, v6, v2, s[20:21]
	v_lshl_add_u32 v0, v0, 23, v3
	v_lshl_or_b32 v0, v2, 21, v0
	v_add_u32_e32 v0, 0x38000000, v0
                                        ; implicit-def: $vgpr6
.LBB2_192:                              ;   in Loop: Header=BB2_115 Depth=3
	s_andn2_saveexec_b64 s[90:91], s[90:91]
; %bb.193:                              ;   in Loop: Header=BB2_115 Depth=3
	v_cmp_lt_i16_e64 s[20:21], -1, v19
	v_cndmask_b32_e64 v0, v8, v54, s[20:21]
	v_cmp_eq_u32_e64 s[20:21], 0, v6
	v_cndmask_b32_e64 v0, v55, v0, s[20:21]
; %bb.194:                              ;   in Loop: Header=BB2_115 Depth=3
	s_or_b64 exec, exec, s[90:91]
.LBB2_195:                              ;   in Loop: Header=BB2_115 Depth=3
	s_or_b64 exec, exec, s[88:89]
.LBB2_196:                              ;   in Loop: Header=BB2_115 Depth=3
	s_or_b64 exec, exec, s[78:79]
	v_cmp_ne_u16_e64 s[20:21], 0, v27
	s_and_saveexec_b64 s[78:79], s[20:21]
	s_cbranch_execz .LBB2_204
; %bb.197:                              ;   in Loop: Header=BB2_115 Depth=3
	v_cmp_ne_u16_e64 s[20:21], s50, v27
	v_bfrev_b32_e32 v5, 1
	s_and_saveexec_b64 s[88:89], s[20:21]
	s_cbranch_execz .LBB2_203
; %bb.198:                              ;   in Loop: Header=BB2_115 Depth=3
	v_and_b32_e32 v3, 0x7c, v27
	v_and_b32_e32 v2, 3, v27
	v_cmp_ne_u32_e64 s[20:21], s49, v3
                                        ; implicit-def: $vgpr5
	s_and_saveexec_b64 s[90:91], s[20:21]
	s_xor_b64 s[90:91], exec, s[90:91]
	s_cbranch_execz .LBB2_200
; %bb.199:                              ;   in Loop: Header=BB2_115 Depth=3
	v_ffbh_u32_e32 v5, v2
	v_min_u32_e32 v17, 32, v5
	v_mov_b32_e32 v28, v59
	v_subrev_u32_e32 v5, 29, v17
	v_lshlrev_b64 v[5:6], v5, v[27:28]
	v_bfe_u32 v3, v27, 2, 5
	v_and_b32_e32 v5, 3, v5
	v_cmp_eq_u32_e64 s[20:21], 0, v3
	v_sub_u32_e32 v6, 30, v17
	v_cndmask_b32_e64 v2, v2, v5, s[20:21]
	v_lshlrev_b32_e32 v5, 16, v58
	v_cndmask_b32_e64 v3, v3, v6, s[20:21]
	v_and_b32_e32 v5, 0x80000000, v5
	v_lshl_add_u32 v3, v3, 23, v5
	v_lshl_or_b32 v2, v2, 21, v3
	v_add_u32_e32 v5, 0x38000000, v2
                                        ; implicit-def: $vgpr2
.LBB2_200:                              ;   in Loop: Header=BB2_115 Depth=3
	s_andn2_saveexec_b64 s[90:91], s[90:91]
; %bb.201:                              ;   in Loop: Header=BB2_115 Depth=3
	v_cmp_lt_i16_e64 s[20:21], -1, v58
	v_cndmask_b32_e64 v3, v8, v54, s[20:21]
	v_cmp_eq_u32_e64 s[20:21], 0, v2
	v_cndmask_b32_e64 v5, v55, v3, s[20:21]
; %bb.202:                              ;   in Loop: Header=BB2_115 Depth=3
	s_or_b64 exec, exec, s[90:91]
.LBB2_203:                              ;   in Loop: Header=BB2_115 Depth=3
	s_or_b64 exec, exec, s[88:89]
.LBB2_204:                              ;   in Loop: Header=BB2_115 Depth=3
	s_or_b64 exec, exec, s[78:79]
	v_max_f32_e32 v2, v5, v5
	v_max_f32_e32 v0, v0, v0
	;; [unrolled: 1-line block ×3, first 2 shown]
                                        ; implicit-def: $vgpr27
                                        ; implicit-def: $vgpr2
.LBB2_205:                              ;   in Loop: Header=BB2_115 Depth=3
	s_andn2_saveexec_b64 s[20:21], s[76:77]
	s_cbranch_execz .LBB2_223
; %bb.206:                              ;   in Loop: Header=BB2_115 Depth=3
	v_mov_b32_e32 v5, 0
	v_mov_b32_e32 v0, 0
	s_and_saveexec_b64 s[76:77], vcc
	s_cbranch_execz .LBB2_214
; %bb.207:                              ;   in Loop: Header=BB2_115 Depth=3
	v_cmp_ne_u16_e32 vcc, s50, v2
	v_bfrev_b32_e32 v0, 1
	s_and_saveexec_b64 s[78:79], vcc
	s_cbranch_execz .LBB2_213
; %bb.208:                              ;   in Loop: Header=BB2_115 Depth=3
	v_and_b32_e32 v0, 0x7c, v2
	v_and_b32_e32 v6, 3, v2
	v_cmp_ne_u32_e32 vcc, s49, v0
                                        ; implicit-def: $vgpr0
	s_and_saveexec_b64 s[88:89], vcc
	s_xor_b64 s[88:89], exec, s[88:89]
	s_cbranch_execz .LBB2_210
; %bb.209:                              ;   in Loop: Header=BB2_115 Depth=3
	v_ffbh_u32_e32 v17, v6
	v_min_u32_e32 v17, 32, v17
	v_mov_b32_e32 v3, v59
	v_subrev_u32_e32 v20, 29, v17
	v_bfe_u32 v0, v2, 2, 5
	v_lshlrev_b64 v[2:3], v20, v[2:3]
	v_sub_u32_e32 v3, 30, v17
	v_cmp_eq_u32_e32 vcc, 0, v0
	v_cndmask_b32_e32 v0, v0, v3, vcc
	v_lshlrev_b32_e32 v3, 16, v19
	v_and_b32_e32 v2, 3, v2
	v_and_b32_e32 v3, 0x80000000, v3
	v_cndmask_b32_e32 v2, v6, v2, vcc
	v_lshl_add_u32 v0, v0, 23, v3
	v_lshl_or_b32 v0, v2, 21, v0
	v_add_u32_e32 v0, 0x38000000, v0
                                        ; implicit-def: $vgpr6
.LBB2_210:                              ;   in Loop: Header=BB2_115 Depth=3
	s_andn2_saveexec_b64 s[88:89], s[88:89]
; %bb.211:                              ;   in Loop: Header=BB2_115 Depth=3
	v_cmp_lt_i16_e32 vcc, -1, v19
	v_cndmask_b32_e32 v0, v8, v54, vcc
	v_cmp_eq_u32_e32 vcc, 0, v6
	v_cndmask_b32_e32 v0, v55, v0, vcc
; %bb.212:                              ;   in Loop: Header=BB2_115 Depth=3
	s_or_b64 exec, exec, s[88:89]
.LBB2_213:                              ;   in Loop: Header=BB2_115 Depth=3
	s_or_b64 exec, exec, s[78:79]
.LBB2_214:                              ;   in Loop: Header=BB2_115 Depth=3
	s_or_b64 exec, exec, s[76:77]
	v_cmp_ne_u16_e32 vcc, 0, v27
	s_and_saveexec_b64 s[76:77], vcc
	s_cbranch_execz .LBB2_222
; %bb.215:                              ;   in Loop: Header=BB2_115 Depth=3
	v_cmp_ne_u16_e32 vcc, s50, v27
	v_bfrev_b32_e32 v5, 1
	s_and_saveexec_b64 s[78:79], vcc
	s_cbranch_execz .LBB2_221
; %bb.216:                              ;   in Loop: Header=BB2_115 Depth=3
	v_and_b32_e32 v3, 0x7c, v27
	v_and_b32_e32 v2, 3, v27
	v_cmp_ne_u32_e32 vcc, s49, v3
                                        ; implicit-def: $vgpr5
	s_and_saveexec_b64 s[88:89], vcc
	s_xor_b64 s[88:89], exec, s[88:89]
	s_cbranch_execz .LBB2_218
; %bb.217:                              ;   in Loop: Header=BB2_115 Depth=3
	v_ffbh_u32_e32 v5, v2
	v_min_u32_e32 v17, 32, v5
	v_mov_b32_e32 v28, v59
	v_subrev_u32_e32 v5, 29, v17
	v_lshlrev_b64 v[5:6], v5, v[27:28]
	v_bfe_u32 v3, v27, 2, 5
	v_and_b32_e32 v5, 3, v5
	v_cmp_eq_u32_e32 vcc, 0, v3
	v_sub_u32_e32 v6, 30, v17
	v_cndmask_b32_e32 v2, v2, v5, vcc
	v_lshlrev_b32_e32 v5, 16, v58
	v_cndmask_b32_e32 v3, v3, v6, vcc
	v_and_b32_e32 v5, 0x80000000, v5
	v_lshl_add_u32 v3, v3, 23, v5
	v_lshl_or_b32 v2, v2, 21, v3
	v_add_u32_e32 v5, 0x38000000, v2
                                        ; implicit-def: $vgpr2
.LBB2_218:                              ;   in Loop: Header=BB2_115 Depth=3
	s_andn2_saveexec_b64 s[88:89], s[88:89]
; %bb.219:                              ;   in Loop: Header=BB2_115 Depth=3
	v_cmp_lt_i16_e32 vcc, -1, v58
	v_cndmask_b32_e32 v3, v8, v54, vcc
	v_cmp_eq_u32_e32 vcc, 0, v2
	v_cndmask_b32_e32 v5, v55, v3, vcc
; %bb.220:                              ;   in Loop: Header=BB2_115 Depth=3
	s_or_b64 exec, exec, s[88:89]
.LBB2_221:                              ;   in Loop: Header=BB2_115 Depth=3
	s_or_b64 exec, exec, s[78:79]
.LBB2_222:                              ;   in Loop: Header=BB2_115 Depth=3
	s_or_b64 exec, exec, s[76:77]
	v_max_f32_e32 v2, v5, v5
	v_max_f32_e32 v0, v0, v0
	v_min_f32_e32 v5, v0, v2
.LBB2_223:                              ;   in Loop: Header=BB2_115 Depth=3
	s_or_b64 exec, exec, s[20:21]
	v_and_b32_e32 v27, 0x7f800000, v5
	v_mov_b32_e32 v28, v59
	v_cmp_ne_u64_e32 vcc, s[58:59], v[27:28]
	v_and_b32_e32 v2, 0x7fffff, v5
	v_mov_b32_e32 v3, v59
                                        ; implicit-def: $vgpr57
	s_and_saveexec_b64 s[20:21], vcc
	s_xor_b64 s[76:77], exec, s[20:21]
	s_cbranch_execz .LBB2_237
; %bb.224:                              ;   in Loop: Header=BB2_115 Depth=3
	v_and_b32_e32 v27, 0x7fffffff, v5
	v_mov_b32_e32 v28, v59
	v_cmp_gt_u64_e32 vcc, s[60:61], v[27:28]
	v_and_b32_sdwa v0, v5, s50 dst_sel:DWORD dst_unused:UNUSED_PAD src0_sel:BYTE_3 src1_sel:DWORD
                                        ; implicit-def: $vgpr57
	s_and_saveexec_b64 s[20:21], vcc
	s_xor_b64 s[78:79], exec, s[20:21]
	s_cbranch_execz .LBB2_234
; %bb.225:                              ;   in Loop: Header=BB2_115 Depth=3
	v_mov_b32_e32 v57, 0
	v_cmp_ne_u32_e32 vcc, 0, v5
	s_and_saveexec_b64 s[88:89], vcc
	s_cbranch_execz .LBB2_233
; %bb.226:                              ;   in Loop: Header=BB2_115 Depth=3
	v_bfe_u32 v17, v5, 23, 8
	v_cmp_gt_u32_e64 s[20:21], s51, v17
	v_sub_u32_e32 v5, 0x71, v17
	v_cmp_eq_u32_e32 vcc, 0, v17
	v_cndmask_b32_e64 v5, 0, v5, s[20:21]
	v_cndmask_b32_e32 v20, v5, v25, vcc
	v_or_b32_e32 v6, 0x800000, v2
	v_add_u32_e32 v5, 21, v20
	v_cndmask_b32_e32 v2, v6, v2, vcc
	v_lshlrev_b64 v[5:6], v5, -1
	v_add_u32_e32 v23, 20, v20
	v_bfi_b32 v5, v5, 0, v2
	v_lshlrev_b64 v[27:28], v23, 1
	v_lshrrev_b64 v[2:3], v20, v[2:3]
	v_bfi_b32 v6, v6, 0, 0
	v_cmp_eq_u64_e64 s[20:21], v[5:6], v[27:28]
	v_mov_b32_e32 v6, v3
	v_mov_b32_e32 v5, v2
	s_and_saveexec_b64 s[90:91], s[20:21]
; %bb.227:                              ;   in Loop: Header=BB2_115 Depth=3
	v_bfe_u32 v3, v2, 21, 1
	v_add_co_u32_e64 v3, s[20:21], v2, v3
	v_add_co_u32_e64 v5, s[20:21], -1, v3
; %bb.228:                              ;   in Loop: Header=BB2_115 Depth=3
	s_or_b64 exec, exec, s[90:91]
	v_add_u32_e32 v3, 0xffffff81, v17
	v_cndmask_b32_e32 v3, v3, v48, vcc
	v_lshrrev_b32_e32 v6, 23, v2
	v_add3_u32 v17, v20, v3, v6
	v_add_u32_e32 v6, 14, v17
	v_and_b32_e32 v3, 0x1fffff, v5
	v_add_u32_e32 v2, v3, v2
	v_mov_b32_e32 v3, v59
	v_cmp_ne_u32_e32 vcc, 0, v6
                                        ; implicit-def: $vgpr5
	s_and_saveexec_b64 s[20:21], vcc
	s_xor_b64 s[20:21], exec, s[20:21]
; %bb.229:                              ;   in Loop: Header=BB2_115 Depth=3
	v_cmp_lt_u64_e32 vcc, s[62:63], v[2:3]
	v_add_u32_e32 v5, 15, v17
	v_cndmask_b32_e32 v5, v6, v5, vcc
	v_cndmask_b32_e64 v6, 0, 1, vcc
	v_lshrrev_b64 v[2:3], v6, v[2:3]
; %bb.230:                              ;   in Loop: Header=BB2_115 Depth=3
	s_andn2_saveexec_b64 s[20:21], s[20:21]
; %bb.231:                              ;   in Loop: Header=BB2_115 Depth=3
	v_bfe_u32 v5, v2, 23, 1
; %bb.232:                              ;   in Loop: Header=BB2_115 Depth=3
	s_or_b64 exec, exec, s[20:21]
	v_lshrrev_b64 v[2:3], 21, v[2:3]
	v_cmp_gt_i32_e32 vcc, 32, v5
	v_cndmask_b32_e32 v3, 0, v3, vcc
	v_cndmask_b32_e32 v2, 3, v2, vcc
	v_cmp_eq_u64_e64 s[20:21], 0, v[2:3]
	v_min_i32_e32 v3, 31, v5
	v_lshlrev_b32_e32 v3, 2, v3
	v_cmp_eq_u32_e32 vcc, 0, v5
	v_and_b32_e32 v3, 0xfc, v3
	v_and_or_b32 v2, v2, 3, v3
	s_and_b64 s[20:21], vcc, s[20:21]
	v_cndmask_b32_e64 v2, v2, 0, s[20:21]
	v_or_b32_e32 v57, v2, v0
.LBB2_233:                              ;   in Loop: Header=BB2_115 Depth=3
	s_or_b64 exec, exec, s[88:89]
                                        ; implicit-def: $vgpr0
.LBB2_234:                              ;   in Loop: Header=BB2_115 Depth=3
	s_andn2_saveexec_b64 s[20:21], s[78:79]
; %bb.235:                              ;   in Loop: Header=BB2_115 Depth=3
	v_or_b32_e32 v57, 0x7b, v0
; %bb.236:                              ;   in Loop: Header=BB2_115 Depth=3
	s_or_b64 exec, exec, s[20:21]
                                        ; implicit-def: $vgpr5
                                        ; implicit-def: $vgpr2_vgpr3
.LBB2_237:                              ;   in Loop: Header=BB2_115 Depth=3
	s_andn2_saveexec_b64 s[20:21], s[76:77]
	s_cbranch_execz .LBB2_243
; %bb.238:                              ;   in Loop: Header=BB2_115 Depth=3
	v_cmp_ne_u64_e32 vcc, 0, v[2:3]
                                        ; implicit-def: $vgpr57
	s_and_saveexec_b64 s[76:77], vcc
	s_xor_b64 s[76:77], exec, s[76:77]
; %bb.239:                              ;   in Loop: Header=BB2_115 Depth=3
	v_or_b32_sdwa v57, v5, s52 dst_sel:DWORD dst_unused:UNUSED_PAD src0_sel:BYTE_3 src1_sel:DWORD
                                        ; implicit-def: $vgpr5
; %bb.240:                              ;   in Loop: Header=BB2_115 Depth=3
	s_andn2_saveexec_b64 s[76:77], s[76:77]
; %bb.241:                              ;   in Loop: Header=BB2_115 Depth=3
	v_cmp_lt_i32_e32 vcc, -1, v5
	v_cndmask_b32_e32 v57, v49, v31, vcc
; %bb.242:                              ;   in Loop: Header=BB2_115 Depth=3
	s_or_b64 exec, exec, s[76:77]
.LBB2_243:                              ;   in Loop: Header=BB2_115 Depth=3
	s_or_b64 exec, exec, s[20:21]
	v_lshrrev_b32_e32 v17, 16, v19
	v_lshrrev_b32_e32 v0, 16, v58
	v_cmp_ne_u16_sdwa s[20:21], v17, v59 src0_sel:BYTE_0 src1_sel:DWORD
                                        ; implicit-def: $vgpr5
	s_and_saveexec_b64 s[76:77], s[14:15]
	s_xor_b64 s[76:77], exec, s[76:77]
	s_cbranch_execz .LBB2_261
; %bb.244:                              ;   in Loop: Header=BB2_115 Depth=3
	v_mov_b32_e32 v3, 0
	v_mov_b32_e32 v2, 0
	s_and_saveexec_b64 s[78:79], s[20:21]
	s_cbranch_execz .LBB2_252
; %bb.245:                              ;   in Loop: Header=BB2_115 Depth=3
	v_cmp_ne_u16_sdwa s[90:91], v17, s50 src0_sel:BYTE_0 src1_sel:DWORD
	v_bfrev_b32_e32 v2, 1
	s_and_saveexec_b64 s[88:89], s[90:91]
	s_cbranch_execz .LBB2_251
; %bb.246:                              ;   in Loop: Header=BB2_115 Depth=3
	v_and_b32_e32 v2, 0x7c0000, v19
	v_bfe_u32 v5, v19, 16, 2
	v_cmp_ne_u32_e32 vcc, s53, v2
                                        ; implicit-def: $vgpr2
	s_and_saveexec_b64 s[90:91], vcc
	s_xor_b64 s[90:91], exec, s[90:91]
	s_cbranch_execz .LBB2_248
; %bb.247:                              ;   in Loop: Header=BB2_115 Depth=3
	v_ffbh_u32_e32 v6, v5
	v_min_u32_e32 v6, 32, v6
	v_bfe_u32 v2, v19, 18, 5
	v_subrev_u32_e32 v20, 29, v6
	v_lshlrev_b64 v[27:28], v20, v[17:18]
	v_sub_u32_e32 v6, 30, v6
	v_cmp_eq_u32_e32 vcc, 0, v2
	v_cndmask_b32_e32 v2, v2, v6, vcc
	v_lshlrev_b32_e32 v6, 24, v17
	v_and_b32_e32 v20, 3, v27
	v_and_b32_e32 v6, 0x80000000, v6
	v_cndmask_b32_e32 v5, v5, v20, vcc
	v_lshl_add_u32 v2, v2, 23, v6
	v_lshl_or_b32 v2, v5, 21, v2
	v_add_u32_e32 v2, 0x38000000, v2
                                        ; implicit-def: $vgpr5
                                        ; implicit-def: $vgpr17
.LBB2_248:                              ;   in Loop: Header=BB2_115 Depth=3
	s_andn2_saveexec_b64 s[90:91], s[90:91]
; %bb.249:                              ;   in Loop: Header=BB2_115 Depth=3
	v_cmp_gt_i16_sdwa vcc, sext(v17), v43 src0_sel:BYTE_0 src1_sel:DWORD
	v_cndmask_b32_e32 v2, v8, v54, vcc
	v_cmp_eq_u32_e32 vcc, 0, v5
	v_cndmask_b32_e32 v2, v55, v2, vcc
; %bb.250:                              ;   in Loop: Header=BB2_115 Depth=3
	s_or_b64 exec, exec, s[90:91]
.LBB2_251:                              ;   in Loop: Header=BB2_115 Depth=3
	s_or_b64 exec, exec, s[88:89]
.LBB2_252:                              ;   in Loop: Header=BB2_115 Depth=3
	s_or_b64 exec, exec, s[78:79]
	v_and_b32_sdwa v6, v58, s39 dst_sel:DWORD dst_unused:UNUSED_PAD src0_sel:WORD_1 src1_sel:DWORD
	v_lshrrev_b32_e32 v5, 16, v58
	v_cmp_ne_u16_e32 vcc, 0, v6
	s_and_saveexec_b64 s[78:79], vcc
	s_cbranch_execz .LBB2_260
; %bb.253:                              ;   in Loop: Header=BB2_115 Depth=3
	v_cmp_ne_u16_e32 vcc, s50, v6
	v_bfrev_b32_e32 v3, 1
	s_and_saveexec_b64 s[88:89], vcc
	s_cbranch_execz .LBB2_259
; %bb.254:                              ;   in Loop: Header=BB2_115 Depth=3
	v_and_b32_e32 v3, 0x7c0000, v58
	v_bfe_u32 v6, v58, 16, 2
	v_cmp_ne_u32_e32 vcc, s53, v3
                                        ; implicit-def: $vgpr3
	s_and_saveexec_b64 s[90:91], vcc
	s_xor_b64 s[90:91], exec, s[90:91]
	s_cbranch_execz .LBB2_256
; %bb.255:                              ;   in Loop: Header=BB2_115 Depth=3
	v_ffbh_u32_e32 v5, v6
	v_min_u32_e32 v5, 32, v5
	v_subrev_u32_e32 v17, 29, v5
	v_bfe_u32 v3, v58, 18, 5
	v_lshlrev_b64 v[27:28], v17, v[0:1]
	v_sub_u32_e32 v5, 30, v5
	v_cmp_eq_u32_e32 vcc, 0, v3
	v_lshlrev_b32_e32 v0, 24, v0
	v_and_b32_e32 v17, 3, v27
	v_cndmask_b32_e32 v3, v3, v5, vcc
	v_and_b32_e32 v0, 0x80000000, v0
	v_cndmask_b32_e32 v5, v6, v17, vcc
	v_lshl_add_u32 v0, v3, 23, v0
	v_lshl_or_b32 v0, v5, 21, v0
	v_add_u32_e32 v3, 0x38000000, v0
                                        ; implicit-def: $vgpr6
                                        ; implicit-def: $vgpr5
.LBB2_256:                              ;   in Loop: Header=BB2_115 Depth=3
	s_andn2_saveexec_b64 s[90:91], s[90:91]
; %bb.257:                              ;   in Loop: Header=BB2_115 Depth=3
	v_cmp_gt_i16_sdwa vcc, sext(v5), v43 src0_sel:BYTE_0 src1_sel:DWORD
	v_cndmask_b32_e32 v0, v8, v54, vcc
	v_cmp_eq_u32_e32 vcc, 0, v6
	v_cndmask_b32_e32 v3, v55, v0, vcc
; %bb.258:                              ;   in Loop: Header=BB2_115 Depth=3
	s_or_b64 exec, exec, s[90:91]
.LBB2_259:                              ;   in Loop: Header=BB2_115 Depth=3
	s_or_b64 exec, exec, s[88:89]
.LBB2_260:                              ;   in Loop: Header=BB2_115 Depth=3
	s_or_b64 exec, exec, s[78:79]
	v_max_f32_e32 v0, v3, v3
	v_max_f32_e32 v2, v2, v2
	v_max_f32_e32 v5, v2, v0
                                        ; implicit-def: $vgpr17
                                        ; implicit-def: $vgpr0
.LBB2_261:                              ;   in Loop: Header=BB2_115 Depth=3
	s_andn2_saveexec_b64 s[76:77], s[76:77]
	s_cbranch_execz .LBB2_279
; %bb.262:                              ;   in Loop: Header=BB2_115 Depth=3
	v_mov_b32_e32 v3, 0
	v_mov_b32_e32 v2, 0
	s_and_saveexec_b64 s[78:79], s[20:21]
	s_cbranch_execz .LBB2_270
; %bb.263:                              ;   in Loop: Header=BB2_115 Depth=3
	v_cmp_ne_u16_sdwa s[88:89], v17, s50 src0_sel:BYTE_0 src1_sel:DWORD
	v_bfrev_b32_e32 v2, 1
	s_and_saveexec_b64 s[20:21], s[88:89]
	s_cbranch_execz .LBB2_269
; %bb.264:                              ;   in Loop: Header=BB2_115 Depth=3
	v_and_b32_e32 v2, 0x7c0000, v19
	v_bfe_u32 v5, v19, 16, 2
	v_cmp_ne_u32_e32 vcc, s53, v2
                                        ; implicit-def: $vgpr2
	s_and_saveexec_b64 s[88:89], vcc
	s_xor_b64 s[88:89], exec, s[88:89]
	s_cbranch_execz .LBB2_266
; %bb.265:                              ;   in Loop: Header=BB2_115 Depth=3
	v_ffbh_u32_e32 v6, v5
	v_min_u32_e32 v6, 32, v6
	v_bfe_u32 v2, v19, 18, 5
	v_subrev_u32_e32 v20, 29, v6
	v_lshlrev_b64 v[27:28], v20, v[17:18]
	v_sub_u32_e32 v6, 30, v6
	v_cmp_eq_u32_e32 vcc, 0, v2
	v_cndmask_b32_e32 v2, v2, v6, vcc
	v_lshlrev_b32_e32 v6, 24, v17
	v_and_b32_e32 v20, 3, v27
	v_and_b32_e32 v6, 0x80000000, v6
	v_cndmask_b32_e32 v5, v5, v20, vcc
	v_lshl_add_u32 v2, v2, 23, v6
	v_lshl_or_b32 v2, v5, 21, v2
	v_add_u32_e32 v2, 0x38000000, v2
                                        ; implicit-def: $vgpr5
                                        ; implicit-def: $vgpr17
.LBB2_266:                              ;   in Loop: Header=BB2_115 Depth=3
	s_andn2_saveexec_b64 s[88:89], s[88:89]
; %bb.267:                              ;   in Loop: Header=BB2_115 Depth=3
	v_cmp_gt_i16_sdwa vcc, sext(v17), v43 src0_sel:BYTE_0 src1_sel:DWORD
	v_cndmask_b32_e32 v2, v8, v54, vcc
	v_cmp_eq_u32_e32 vcc, 0, v5
	v_cndmask_b32_e32 v2, v55, v2, vcc
; %bb.268:                              ;   in Loop: Header=BB2_115 Depth=3
	s_or_b64 exec, exec, s[88:89]
.LBB2_269:                              ;   in Loop: Header=BB2_115 Depth=3
	s_or_b64 exec, exec, s[20:21]
.LBB2_270:                              ;   in Loop: Header=BB2_115 Depth=3
	s_or_b64 exec, exec, s[78:79]
	v_and_b32_sdwa v6, v58, s39 dst_sel:DWORD dst_unused:UNUSED_PAD src0_sel:WORD_1 src1_sel:DWORD
	v_lshrrev_b32_e32 v5, 16, v58
	v_cmp_ne_u16_e32 vcc, 0, v6
	s_and_saveexec_b64 s[20:21], vcc
	s_cbranch_execz .LBB2_278
; %bb.271:                              ;   in Loop: Header=BB2_115 Depth=3
	v_cmp_ne_u16_e32 vcc, s50, v6
	v_bfrev_b32_e32 v3, 1
	s_and_saveexec_b64 s[78:79], vcc
	s_cbranch_execz .LBB2_277
; %bb.272:                              ;   in Loop: Header=BB2_115 Depth=3
	v_and_b32_e32 v3, 0x7c0000, v58
	v_bfe_u32 v6, v58, 16, 2
	v_cmp_ne_u32_e32 vcc, s53, v3
                                        ; implicit-def: $vgpr3
	s_and_saveexec_b64 s[88:89], vcc
	s_xor_b64 s[88:89], exec, s[88:89]
	s_cbranch_execz .LBB2_274
; %bb.273:                              ;   in Loop: Header=BB2_115 Depth=3
	v_ffbh_u32_e32 v5, v6
	v_min_u32_e32 v5, 32, v5
	v_subrev_u32_e32 v17, 29, v5
	v_bfe_u32 v3, v58, 18, 5
	v_lshlrev_b64 v[27:28], v17, v[0:1]
	v_sub_u32_e32 v5, 30, v5
	v_cmp_eq_u32_e32 vcc, 0, v3
	v_lshlrev_b32_e32 v0, 24, v0
	v_and_b32_e32 v17, 3, v27
	v_cndmask_b32_e32 v3, v3, v5, vcc
	v_and_b32_e32 v0, 0x80000000, v0
	v_cndmask_b32_e32 v5, v6, v17, vcc
	v_lshl_add_u32 v0, v3, 23, v0
	v_lshl_or_b32 v0, v5, 21, v0
	v_add_u32_e32 v3, 0x38000000, v0
                                        ; implicit-def: $vgpr6
                                        ; implicit-def: $vgpr5
.LBB2_274:                              ;   in Loop: Header=BB2_115 Depth=3
	s_andn2_saveexec_b64 s[88:89], s[88:89]
; %bb.275:                              ;   in Loop: Header=BB2_115 Depth=3
	v_cmp_gt_i16_sdwa vcc, sext(v5), v43 src0_sel:BYTE_0 src1_sel:DWORD
	v_cndmask_b32_e32 v0, v8, v54, vcc
	v_cmp_eq_u32_e32 vcc, 0, v6
	v_cndmask_b32_e32 v3, v55, v0, vcc
; %bb.276:                              ;   in Loop: Header=BB2_115 Depth=3
	s_or_b64 exec, exec, s[88:89]
.LBB2_277:                              ;   in Loop: Header=BB2_115 Depth=3
	s_or_b64 exec, exec, s[78:79]
.LBB2_278:                              ;   in Loop: Header=BB2_115 Depth=3
	s_or_b64 exec, exec, s[20:21]
	v_max_f32_e32 v0, v3, v3
	v_max_f32_e32 v2, v2, v2
	v_min_f32_e32 v5, v2, v0
.LBB2_279:                              ;   in Loop: Header=BB2_115 Depth=3
	s_or_b64 exec, exec, s[76:77]
	v_and_b32_e32 v27, 0x7f800000, v5
	v_mov_b32_e32 v28, v59
	v_cmp_ne_u64_e32 vcc, s[58:59], v[27:28]
	v_and_b32_e32 v2, 0x7fffff, v5
	v_mov_b32_e32 v3, v59
                                        ; implicit-def: $vgpr23
	s_and_saveexec_b64 s[20:21], vcc
	s_xor_b64 s[76:77], exec, s[20:21]
	s_cbranch_execz .LBB2_293
; %bb.280:                              ;   in Loop: Header=BB2_115 Depth=3
	v_and_b32_e32 v27, 0x7fffffff, v5
	v_mov_b32_e32 v28, v59
	v_cmp_gt_u64_e32 vcc, s[60:61], v[27:28]
	v_and_b32_sdwa v0, v5, s50 dst_sel:DWORD dst_unused:UNUSED_PAD src0_sel:BYTE_3 src1_sel:DWORD
                                        ; implicit-def: $vgpr23
	s_and_saveexec_b64 s[20:21], vcc
	s_xor_b64 s[78:79], exec, s[20:21]
	s_cbranch_execz .LBB2_290
; %bb.281:                              ;   in Loop: Header=BB2_115 Depth=3
	v_mov_b32_e32 v23, 0
	v_cmp_ne_u32_e32 vcc, 0, v5
	s_and_saveexec_b64 s[88:89], vcc
	s_cbranch_execz .LBB2_289
; %bb.282:                              ;   in Loop: Header=BB2_115 Depth=3
	v_bfe_u32 v17, v5, 23, 8
	v_cmp_gt_u32_e64 s[20:21], s51, v17
	v_sub_u32_e32 v5, 0x71, v17
	v_cmp_eq_u32_e32 vcc, 0, v17
	v_cndmask_b32_e64 v5, 0, v5, s[20:21]
	v_cndmask_b32_e32 v20, v5, v25, vcc
	v_or_b32_e32 v6, 0x800000, v2
	v_add_u32_e32 v5, 21, v20
	v_cndmask_b32_e32 v2, v6, v2, vcc
	v_lshlrev_b64 v[5:6], v5, -1
	v_add_u32_e32 v23, 20, v20
	v_bfi_b32 v5, v5, 0, v2
	v_lshlrev_b64 v[27:28], v23, 1
	v_lshrrev_b64 v[2:3], v20, v[2:3]
	v_bfi_b32 v6, v6, 0, 0
	v_cmp_eq_u64_e64 s[20:21], v[5:6], v[27:28]
	v_mov_b32_e32 v6, v3
	v_mov_b32_e32 v5, v2
	s_and_saveexec_b64 s[90:91], s[20:21]
; %bb.283:                              ;   in Loop: Header=BB2_115 Depth=3
	v_bfe_u32 v3, v2, 21, 1
	v_add_co_u32_e64 v3, s[20:21], v2, v3
	v_add_co_u32_e64 v5, s[20:21], -1, v3
; %bb.284:                              ;   in Loop: Header=BB2_115 Depth=3
	s_or_b64 exec, exec, s[90:91]
	v_add_u32_e32 v3, 0xffffff81, v17
	v_cndmask_b32_e32 v3, v3, v48, vcc
	v_lshrrev_b32_e32 v6, 23, v2
	v_add3_u32 v17, v20, v3, v6
	v_add_u32_e32 v6, 14, v17
	v_and_b32_e32 v3, 0x1fffff, v5
	v_add_u32_e32 v2, v3, v2
	v_mov_b32_e32 v3, v59
	v_cmp_ne_u32_e32 vcc, 0, v6
                                        ; implicit-def: $vgpr5
	s_and_saveexec_b64 s[20:21], vcc
	s_xor_b64 s[20:21], exec, s[20:21]
; %bb.285:                              ;   in Loop: Header=BB2_115 Depth=3
	v_cmp_lt_u64_e32 vcc, s[62:63], v[2:3]
	v_add_u32_e32 v5, 15, v17
	v_cndmask_b32_e32 v5, v6, v5, vcc
	v_cndmask_b32_e64 v6, 0, 1, vcc
	v_lshrrev_b64 v[2:3], v6, v[2:3]
; %bb.286:                              ;   in Loop: Header=BB2_115 Depth=3
	s_andn2_saveexec_b64 s[20:21], s[20:21]
; %bb.287:                              ;   in Loop: Header=BB2_115 Depth=3
	v_bfe_u32 v5, v2, 23, 1
; %bb.288:                              ;   in Loop: Header=BB2_115 Depth=3
	s_or_b64 exec, exec, s[20:21]
	v_lshrrev_b64 v[2:3], 21, v[2:3]
	v_cmp_gt_i32_e32 vcc, 32, v5
	v_cndmask_b32_e32 v3, 0, v3, vcc
	v_cndmask_b32_e32 v2, 3, v2, vcc
	v_cmp_eq_u64_e64 s[20:21], 0, v[2:3]
	v_min_i32_e32 v3, 31, v5
	v_lshlrev_b32_e32 v3, 2, v3
	v_cmp_eq_u32_e32 vcc, 0, v5
	v_and_b32_e32 v3, 0xfc, v3
	v_and_or_b32 v2, v2, 3, v3
	s_and_b64 s[20:21], vcc, s[20:21]
	v_cndmask_b32_e64 v2, v2, 0, s[20:21]
	v_or_b32_e32 v23, v2, v0
.LBB2_289:                              ;   in Loop: Header=BB2_115 Depth=3
	s_or_b64 exec, exec, s[88:89]
                                        ; implicit-def: $vgpr0
.LBB2_290:                              ;   in Loop: Header=BB2_115 Depth=3
	s_andn2_saveexec_b64 s[20:21], s[78:79]
; %bb.291:                              ;   in Loop: Header=BB2_115 Depth=3
	v_or_b32_e32 v23, 0x7b, v0
; %bb.292:                              ;   in Loop: Header=BB2_115 Depth=3
	s_or_b64 exec, exec, s[20:21]
                                        ; implicit-def: $vgpr5
                                        ; implicit-def: $vgpr2_vgpr3
.LBB2_293:                              ;   in Loop: Header=BB2_115 Depth=3
	s_andn2_saveexec_b64 s[20:21], s[76:77]
	s_cbranch_execz .LBB2_299
; %bb.294:                              ;   in Loop: Header=BB2_115 Depth=3
	v_cmp_ne_u64_e32 vcc, 0, v[2:3]
                                        ; implicit-def: $vgpr23
	s_and_saveexec_b64 s[76:77], vcc
	s_xor_b64 s[76:77], exec, s[76:77]
; %bb.295:                              ;   in Loop: Header=BB2_115 Depth=3
	v_or_b32_sdwa v23, v5, s52 dst_sel:DWORD dst_unused:UNUSED_PAD src0_sel:BYTE_3 src1_sel:DWORD
                                        ; implicit-def: $vgpr5
; %bb.296:                              ;   in Loop: Header=BB2_115 Depth=3
	s_andn2_saveexec_b64 s[76:77], s[76:77]
; %bb.297:                              ;   in Loop: Header=BB2_115 Depth=3
	v_cmp_lt_i32_e32 vcc, -1, v5
	v_cndmask_b32_e32 v23, v49, v31, vcc
; %bb.298:                              ;   in Loop: Header=BB2_115 Depth=3
	s_or_b64 exec, exec, s[76:77]
.LBB2_299:                              ;   in Loop: Header=BB2_115 Depth=3
	s_or_b64 exec, exec, s[20:21]
	v_lshrrev_b32_e32 v17, 24, v19
	v_lshrrev_b32_e32 v0, 24, v58
	v_cmp_lt_u32_e32 vcc, s57, v19
                                        ; implicit-def: $vgpr2
	s_and_saveexec_b64 s[20:21], s[14:15]
	s_xor_b64 s[76:77], exec, s[20:21]
	s_cbranch_execz .LBB2_317
; %bb.300:                              ;   in Loop: Header=BB2_115 Depth=3
	v_mov_b32_e32 v3, 0
	v_mov_b32_e32 v2, 0
	s_and_saveexec_b64 s[78:79], vcc
	s_cbranch_execz .LBB2_308
; %bb.301:                              ;   in Loop: Header=BB2_115 Depth=3
	v_cmp_ne_u32_e64 s[20:21], s50, v17
	v_bfrev_b32_e32 v2, 1
	s_and_saveexec_b64 s[88:89], s[20:21]
	s_cbranch_execz .LBB2_307
; %bb.302:                              ;   in Loop: Header=BB2_115 Depth=3
	v_and_b32_e32 v2, 0x7c000000, v19
	v_bfe_u32 v5, v19, 24, 2
	v_cmp_ne_u32_e64 s[20:21], s54, v2
                                        ; implicit-def: $vgpr2
	s_and_saveexec_b64 s[90:91], s[20:21]
	s_xor_b64 s[90:91], exec, s[90:91]
	s_cbranch_execz .LBB2_304
; %bb.303:                              ;   in Loop: Header=BB2_115 Depth=3
	v_ffbh_u32_e32 v6, v5
	v_min_u32_e32 v6, 32, v6
	v_subrev_u32_e32 v20, 29, v6
	v_bfe_u32 v2, v19, 26, 5
	v_lshlrev_b64 v[27:28], v20, v[17:18]
	v_sub_u32_e32 v6, 30, v6
	v_cmp_eq_u32_e64 s[20:21], 0, v2
	v_and_b32_e32 v17, 3, v27
	v_cndmask_b32_e64 v2, v2, v6, s[20:21]
	v_and_b32_e32 v6, 0x80000000, v19
	v_cndmask_b32_e64 v5, v5, v17, s[20:21]
	v_lshl_add_u32 v2, v2, 23, v6
	v_lshl_or_b32 v2, v5, 21, v2
	v_add_u32_e32 v2, 0x38000000, v2
                                        ; implicit-def: $vgpr5
.LBB2_304:                              ;   in Loop: Header=BB2_115 Depth=3
	s_andn2_saveexec_b64 s[90:91], s[90:91]
; %bb.305:                              ;   in Loop: Header=BB2_115 Depth=3
	v_cmp_lt_i32_e64 s[20:21], -1, v19
	v_cndmask_b32_e64 v2, v8, v54, s[20:21]
	v_cmp_eq_u32_e64 s[20:21], 0, v5
	v_cndmask_b32_e64 v2, v55, v2, s[20:21]
; %bb.306:                              ;   in Loop: Header=BB2_115 Depth=3
	s_or_b64 exec, exec, s[90:91]
.LBB2_307:                              ;   in Loop: Header=BB2_115 Depth=3
	s_or_b64 exec, exec, s[88:89]
.LBB2_308:                              ;   in Loop: Header=BB2_115 Depth=3
	s_or_b64 exec, exec, s[78:79]
	v_cmp_lt_u32_e64 s[20:21], s57, v58
	s_and_saveexec_b64 s[78:79], s[20:21]
	s_cbranch_execz .LBB2_316
; %bb.309:                              ;   in Loop: Header=BB2_115 Depth=3
	v_cmp_ne_u32_e64 s[20:21], s50, v0
	v_bfrev_b32_e32 v3, 1
	s_and_saveexec_b64 s[88:89], s[20:21]
	s_cbranch_execz .LBB2_315
; %bb.310:                              ;   in Loop: Header=BB2_115 Depth=3
	v_and_b32_e32 v3, 0x7c000000, v58
	v_bfe_u32 v5, v58, 24, 2
	v_cmp_ne_u32_e64 s[20:21], s54, v3
                                        ; implicit-def: $vgpr3
	s_and_saveexec_b64 s[90:91], s[20:21]
	s_xor_b64 s[90:91], exec, s[90:91]
	s_cbranch_execz .LBB2_312
; %bb.311:                              ;   in Loop: Header=BB2_115 Depth=3
	v_ffbh_u32_e32 v6, v5
	v_min_u32_e32 v6, 32, v6
	v_subrev_u32_e32 v17, 29, v6
	v_lshlrev_b64 v[19:20], v17, v[0:1]
	v_bfe_u32 v3, v58, 26, 5
	v_sub_u32_e32 v0, 30, v6
	v_and_b32_e32 v6, 3, v19
	v_cmp_eq_u32_e64 s[20:21], 0, v3
	v_cndmask_b32_e64 v0, v3, v0, s[20:21]
	v_cndmask_b32_e64 v3, v5, v6, s[20:21]
	v_and_b32_e32 v5, 0x80000000, v58
	v_lshl_add_u32 v0, v0, 23, v5
	v_lshl_or_b32 v0, v3, 21, v0
	v_add_u32_e32 v3, 0x38000000, v0
                                        ; implicit-def: $vgpr5
.LBB2_312:                              ;   in Loop: Header=BB2_115 Depth=3
	s_andn2_saveexec_b64 s[90:91], s[90:91]
; %bb.313:                              ;   in Loop: Header=BB2_115 Depth=3
	v_cmp_lt_i32_e64 s[20:21], -1, v58
	v_cndmask_b32_e64 v0, v8, v54, s[20:21]
	v_cmp_eq_u32_e64 s[20:21], 0, v5
	v_cndmask_b32_e64 v3, v55, v0, s[20:21]
; %bb.314:                              ;   in Loop: Header=BB2_115 Depth=3
	s_or_b64 exec, exec, s[90:91]
.LBB2_315:                              ;   in Loop: Header=BB2_115 Depth=3
	s_or_b64 exec, exec, s[88:89]
.LBB2_316:                              ;   in Loop: Header=BB2_115 Depth=3
	s_or_b64 exec, exec, s[78:79]
	v_max_f32_e32 v0, v3, v3
	v_max_f32_e32 v2, v2, v2
	;; [unrolled: 1-line block ×3, first 2 shown]
                                        ; implicit-def: $vgpr0
                                        ; implicit-def: $vgpr17
.LBB2_317:                              ;   in Loop: Header=BB2_115 Depth=3
	s_andn2_saveexec_b64 s[20:21], s[76:77]
	s_cbranch_execz .LBB2_335
; %bb.318:                              ;   in Loop: Header=BB2_115 Depth=3
	v_mov_b32_e32 v3, 0
	v_mov_b32_e32 v2, 0
	s_and_saveexec_b64 s[76:77], vcc
	s_cbranch_execz .LBB2_326
; %bb.319:                              ;   in Loop: Header=BB2_115 Depth=3
	v_cmp_ne_u32_e32 vcc, s50, v17
	v_bfrev_b32_e32 v2, 1
	s_and_saveexec_b64 s[78:79], vcc
	s_cbranch_execz .LBB2_325
; %bb.320:                              ;   in Loop: Header=BB2_115 Depth=3
	v_and_b32_e32 v2, 0x7c000000, v19
	v_bfe_u32 v5, v19, 24, 2
	v_cmp_ne_u32_e32 vcc, s54, v2
                                        ; implicit-def: $vgpr2
	s_and_saveexec_b64 s[88:89], vcc
	s_xor_b64 s[88:89], exec, s[88:89]
	s_cbranch_execz .LBB2_322
; %bb.321:                              ;   in Loop: Header=BB2_115 Depth=3
	v_ffbh_u32_e32 v6, v5
	v_min_u32_e32 v6, 32, v6
	v_subrev_u32_e32 v20, 29, v6
	v_bfe_u32 v2, v19, 26, 5
	v_lshlrev_b64 v[27:28], v20, v[17:18]
	v_sub_u32_e32 v6, 30, v6
	v_cmp_eq_u32_e32 vcc, 0, v2
	v_and_b32_e32 v17, 3, v27
	v_cndmask_b32_e32 v2, v2, v6, vcc
	v_and_b32_e32 v6, 0x80000000, v19
	v_cndmask_b32_e32 v5, v5, v17, vcc
	v_lshl_add_u32 v2, v2, 23, v6
	v_lshl_or_b32 v2, v5, 21, v2
	v_add_u32_e32 v2, 0x38000000, v2
                                        ; implicit-def: $vgpr5
.LBB2_322:                              ;   in Loop: Header=BB2_115 Depth=3
	s_andn2_saveexec_b64 s[88:89], s[88:89]
; %bb.323:                              ;   in Loop: Header=BB2_115 Depth=3
	v_cmp_lt_i32_e32 vcc, -1, v19
	v_cndmask_b32_e32 v2, v8, v54, vcc
	v_cmp_eq_u32_e32 vcc, 0, v5
	v_cndmask_b32_e32 v2, v55, v2, vcc
; %bb.324:                              ;   in Loop: Header=BB2_115 Depth=3
	s_or_b64 exec, exec, s[88:89]
.LBB2_325:                              ;   in Loop: Header=BB2_115 Depth=3
	s_or_b64 exec, exec, s[78:79]
.LBB2_326:                              ;   in Loop: Header=BB2_115 Depth=3
	s_or_b64 exec, exec, s[76:77]
	v_cmp_lt_u32_e32 vcc, s57, v58
	s_and_saveexec_b64 s[76:77], vcc
	s_cbranch_execz .LBB2_334
; %bb.327:                              ;   in Loop: Header=BB2_115 Depth=3
	v_cmp_ne_u32_e32 vcc, s50, v0
	v_bfrev_b32_e32 v3, 1
	s_and_saveexec_b64 s[78:79], vcc
	s_cbranch_execz .LBB2_333
; %bb.328:                              ;   in Loop: Header=BB2_115 Depth=3
	v_and_b32_e32 v3, 0x7c000000, v58
	v_bfe_u32 v5, v58, 24, 2
	v_cmp_ne_u32_e32 vcc, s54, v3
                                        ; implicit-def: $vgpr3
	s_and_saveexec_b64 s[88:89], vcc
	s_xor_b64 s[88:89], exec, s[88:89]
	s_cbranch_execz .LBB2_330
; %bb.329:                              ;   in Loop: Header=BB2_115 Depth=3
	v_ffbh_u32_e32 v6, v5
	v_min_u32_e32 v6, 32, v6
	v_subrev_u32_e32 v17, 29, v6
	v_lshlrev_b64 v[19:20], v17, v[0:1]
	v_bfe_u32 v3, v58, 26, 5
	v_sub_u32_e32 v0, 30, v6
	v_and_b32_e32 v6, 3, v19
	v_cmp_eq_u32_e32 vcc, 0, v3
	v_cndmask_b32_e32 v0, v3, v0, vcc
	v_cndmask_b32_e32 v3, v5, v6, vcc
	v_and_b32_e32 v5, 0x80000000, v58
	v_lshl_add_u32 v0, v0, 23, v5
	v_lshl_or_b32 v0, v3, 21, v0
	v_add_u32_e32 v3, 0x38000000, v0
                                        ; implicit-def: $vgpr5
.LBB2_330:                              ;   in Loop: Header=BB2_115 Depth=3
	s_andn2_saveexec_b64 s[88:89], s[88:89]
; %bb.331:                              ;   in Loop: Header=BB2_115 Depth=3
	v_cmp_lt_i32_e32 vcc, -1, v58
	v_cndmask_b32_e32 v0, v8, v54, vcc
	v_cmp_eq_u32_e32 vcc, 0, v5
	v_cndmask_b32_e32 v3, v55, v0, vcc
; %bb.332:                              ;   in Loop: Header=BB2_115 Depth=3
	s_or_b64 exec, exec, s[88:89]
.LBB2_333:                              ;   in Loop: Header=BB2_115 Depth=3
	s_or_b64 exec, exec, s[78:79]
.LBB2_334:                              ;   in Loop: Header=BB2_115 Depth=3
	s_or_b64 exec, exec, s[76:77]
	v_max_f32_e32 v0, v3, v3
	v_max_f32_e32 v2, v2, v2
	v_min_f32_e32 v2, v2, v0
.LBB2_335:                              ;   in Loop: Header=BB2_115 Depth=3
	s_or_b64 exec, exec, s[20:21]
	v_and_b32_e32 v5, 0x7f800000, v2
	v_mov_b32_e32 v6, v59
	v_cmp_ne_u64_e32 vcc, s[58:59], v[5:6]
	v_and_b32_e32 v58, 0x7fffff, v2
                                        ; implicit-def: $vgpr37
	s_and_saveexec_b64 s[20:21], vcc
	s_xor_b64 s[76:77], exec, s[20:21]
	s_cbranch_execz .LBB2_349
; %bb.336:                              ;   in Loop: Header=BB2_115 Depth=3
	v_and_b32_e32 v5, 0x7fffffff, v2
	v_mov_b32_e32 v6, v59
	v_cmp_gt_u64_e32 vcc, s[60:61], v[5:6]
	v_and_b32_sdwa v0, v2, s50 dst_sel:DWORD dst_unused:UNUSED_PAD src0_sel:BYTE_3 src1_sel:DWORD
                                        ; implicit-def: $vgpr37
	s_and_saveexec_b64 s[20:21], vcc
	s_xor_b64 s[78:79], exec, s[20:21]
	s_cbranch_execz .LBB2_346
; %bb.337:                              ;   in Loop: Header=BB2_115 Depth=3
	v_mov_b32_e32 v37, 0
	v_cmp_ne_u32_e32 vcc, 0, v2
	s_and_saveexec_b64 s[88:89], vcc
	s_cbranch_execz .LBB2_345
; %bb.338:                              ;   in Loop: Header=BB2_115 Depth=3
	v_bfe_u32 v17, v2, 23, 8
	v_cmp_gt_u32_e64 s[20:21], s51, v17
	v_sub_u32_e32 v2, 0x71, v17
	v_cmp_eq_u32_e32 vcc, 0, v17
	v_cndmask_b32_e64 v2, 0, v2, s[20:21]
	v_cndmask_b32_e32 v19, v2, v25, vcc
	v_or_b32_e32 v3, 0x800000, v58
	v_add_u32_e32 v2, 21, v19
	v_cndmask_b32_e32 v58, v3, v58, vcc
	v_lshlrev_b64 v[2:3], v2, -1
	v_add_u32_e32 v5, 20, v19
	v_lshlrev_b64 v[5:6], v5, 1
	v_bfi_b32 v3, v3, 0, 0
	v_bfi_b32 v2, v2, 0, v58
	v_cmp_eq_u64_e64 s[20:21], v[2:3], v[5:6]
	v_lshrrev_b64 v[2:3], v19, v[58:59]
	v_mov_b32_e32 v6, v3
	v_mov_b32_e32 v5, v2
	s_and_saveexec_b64 s[90:91], s[20:21]
; %bb.339:                              ;   in Loop: Header=BB2_115 Depth=3
	v_bfe_u32 v3, v2, 21, 1
	v_add_co_u32_e64 v3, s[20:21], v2, v3
	v_add_co_u32_e64 v5, s[20:21], -1, v3
; %bb.340:                              ;   in Loop: Header=BB2_115 Depth=3
	s_or_b64 exec, exec, s[90:91]
	v_add_u32_e32 v3, 0xffffff81, v17
	v_cndmask_b32_e32 v3, v3, v48, vcc
	v_lshrrev_b32_e32 v6, 23, v2
	v_add3_u32 v17, v19, v3, v6
	v_add_u32_e32 v6, 14, v17
	v_and_b32_e32 v3, 0x1fffff, v5
	v_add_u32_e32 v58, v3, v2
	v_cmp_ne_u32_e32 vcc, 0, v6
                                        ; implicit-def: $vgpr2_vgpr3
                                        ; implicit-def: $vgpr5
	s_and_saveexec_b64 s[20:21], vcc
	s_xor_b64 s[20:21], exec, s[20:21]
; %bb.341:                              ;   in Loop: Header=BB2_115 Depth=3
	v_cmp_lt_u64_e32 vcc, s[62:63], v[58:59]
	v_add_u32_e32 v2, 15, v17
	v_cndmask_b32_e32 v5, v6, v2, vcc
	v_cndmask_b32_e64 v2, 0, 1, vcc
	v_lshrrev_b64 v[2:3], v2, v[58:59]
; %bb.342:                              ;   in Loop: Header=BB2_115 Depth=3
	s_andn2_saveexec_b64 s[20:21], s[20:21]
; %bb.343:                              ;   in Loop: Header=BB2_115 Depth=3
	v_mov_b32_e32 v2, v58
	v_bfe_u32 v5, v58, 23, 1
	v_mov_b32_e32 v3, v59
; %bb.344:                              ;   in Loop: Header=BB2_115 Depth=3
	s_or_b64 exec, exec, s[20:21]
	v_lshrrev_b64 v[2:3], 21, v[2:3]
	v_cmp_gt_i32_e32 vcc, 32, v5
	v_cndmask_b32_e32 v3, 0, v3, vcc
	v_cndmask_b32_e32 v2, 3, v2, vcc
	v_cmp_eq_u64_e64 s[20:21], 0, v[2:3]
	v_min_i32_e32 v3, 31, v5
	v_lshlrev_b32_e32 v3, 2, v3
	v_cmp_eq_u32_e32 vcc, 0, v5
	v_and_b32_e32 v3, 0xfc, v3
	v_and_or_b32 v2, v2, 3, v3
	s_and_b64 s[20:21], vcc, s[20:21]
	v_cndmask_b32_e64 v2, v2, 0, s[20:21]
	v_or_b32_e32 v37, v2, v0
.LBB2_345:                              ;   in Loop: Header=BB2_115 Depth=3
	s_or_b64 exec, exec, s[88:89]
                                        ; implicit-def: $vgpr0
.LBB2_346:                              ;   in Loop: Header=BB2_115 Depth=3
	s_andn2_saveexec_b64 s[20:21], s[78:79]
; %bb.347:                              ;   in Loop: Header=BB2_115 Depth=3
	v_or_b32_e32 v37, 0x7b, v0
; %bb.348:                              ;   in Loop: Header=BB2_115 Depth=3
	s_or_b64 exec, exec, s[20:21]
                                        ; implicit-def: $vgpr2
.LBB2_349:                              ;   in Loop: Header=BB2_115 Depth=3
	s_andn2_saveexec_b64 s[20:21], s[76:77]
	s_cbranch_execz .LBB2_355
; %bb.350:                              ;   in Loop: Header=BB2_115 Depth=3
	v_cmp_ne_u64_e32 vcc, 0, v[58:59]
                                        ; implicit-def: $vgpr37
	s_and_saveexec_b64 s[76:77], vcc
	s_xor_b64 s[76:77], exec, s[76:77]
; %bb.351:                              ;   in Loop: Header=BB2_115 Depth=3
	v_or_b32_sdwa v37, v2, s52 dst_sel:DWORD dst_unused:UNUSED_PAD src0_sel:BYTE_3 src1_sel:DWORD
                                        ; implicit-def: $vgpr2
; %bb.352:                              ;   in Loop: Header=BB2_115 Depth=3
	s_andn2_saveexec_b64 s[76:77], s[76:77]
; %bb.353:                              ;   in Loop: Header=BB2_115 Depth=3
	v_cmp_lt_i32_e32 vcc, -1, v2
	v_cndmask_b32_e32 v37, v49, v31, vcc
; %bb.354:                              ;   in Loop: Header=BB2_115 Depth=3
	s_or_b64 exec, exec, s[76:77]
.LBB2_355:                              ;   in Loop: Header=BB2_115 Depth=3
	s_or_b64 exec, exec, s[20:21]
	v_alignbit_b32 v58, v24, v36, v38
	v_cmp_ne_u16_sdwa s[20:21], v21, v59 src0_sel:BYTE_0 src1_sel:DWORD
                                        ; implicit-def: $vgpr5
	s_and_saveexec_b64 s[76:77], s[14:15]
	s_xor_b64 s[76:77], exec, s[76:77]
	s_cbranch_execz .LBB2_373
; %bb.356:                              ;   in Loop: Header=BB2_115 Depth=3
	v_mov_b32_e32 v2, 0
	v_mov_b32_e32 v0, 0
	s_and_saveexec_b64 s[78:79], s[20:21]
	s_cbranch_execz .LBB2_364
; %bb.357:                              ;   in Loop: Header=BB2_115 Depth=3
	v_cmp_ne_u16_sdwa s[90:91], sext(v21), s48 src0_sel:BYTE_0 src1_sel:DWORD
	v_bfrev_b32_e32 v0, 1
	s_and_saveexec_b64 s[88:89], s[90:91]
	s_cbranch_execz .LBB2_363
; %bb.358:                              ;   in Loop: Header=BB2_115 Depth=3
	v_and_b32_e32 v0, 0x7c, v21
	v_and_b32_e32 v3, 3, v21
	v_cmp_ne_u32_e32 vcc, s49, v0
                                        ; implicit-def: $vgpr0
	s_and_saveexec_b64 s[90:91], vcc
	s_xor_b64 s[90:91], exec, s[90:91]
	s_cbranch_execz .LBB2_360
; %bb.359:                              ;   in Loop: Header=BB2_115 Depth=3
	v_ffbh_u32_e32 v5, v3
	v_min_u32_e32 v17, 32, v5
	v_subrev_u32_e32 v5, 29, v17
	v_lshlrev_b64 v[5:6], v5, v[21:22]
	v_bfe_u32 v0, v21, 2, 5
	v_and_b32_e32 v5, 3, v5
	v_cmp_eq_u32_e32 vcc, 0, v0
	v_sub_u32_e32 v6, 30, v17
	v_cndmask_b32_e32 v3, v3, v5, vcc
	v_lshlrev_b32_e32 v5, 24, v21
	v_cndmask_b32_e32 v0, v0, v6, vcc
	v_and_b32_e32 v5, 0x80000000, v5
	v_lshl_add_u32 v0, v0, 23, v5
	v_lshl_or_b32 v0, v3, 21, v0
	v_add_u32_e32 v0, 0x38000000, v0
                                        ; implicit-def: $vgpr3
.LBB2_360:                              ;   in Loop: Header=BB2_115 Depth=3
	s_andn2_saveexec_b64 s[90:91], s[90:91]
; %bb.361:                              ;   in Loop: Header=BB2_115 Depth=3
	v_cmp_gt_i16_sdwa vcc, sext(v21), v43 src0_sel:BYTE_0 src1_sel:DWORD
	v_cndmask_b32_e32 v0, v8, v54, vcc
	v_cmp_eq_u32_e32 vcc, 0, v3
	v_cndmask_b32_e32 v0, v55, v0, vcc
; %bb.362:                              ;   in Loop: Header=BB2_115 Depth=3
	s_or_b64 exec, exec, s[90:91]
.LBB2_363:                              ;   in Loop: Header=BB2_115 Depth=3
	s_or_b64 exec, exec, s[88:89]
.LBB2_364:                              ;   in Loop: Header=BB2_115 Depth=3
	s_or_b64 exec, exec, s[78:79]
	v_cmp_ne_u16_sdwa s[88:89], sext(v58), v59 src0_sel:BYTE_0 src1_sel:DWORD
	s_and_saveexec_b64 s[78:79], s[88:89]
	s_cbranch_execz .LBB2_372
; %bb.365:                              ;   in Loop: Header=BB2_115 Depth=3
	v_cmp_ne_u16_sdwa s[90:91], sext(v58), s48 src0_sel:BYTE_0 src1_sel:DWORD
	v_bfrev_b32_e32 v2, 1
	s_and_saveexec_b64 s[88:89], s[90:91]
	s_cbranch_execz .LBB2_371
; %bb.366:                              ;   in Loop: Header=BB2_115 Depth=3
	v_and_b32_e32 v2, 0x7c, v58
	v_and_b32_e32 v3, 3, v58
	v_cmp_ne_u32_e32 vcc, s49, v2
                                        ; implicit-def: $vgpr2
	s_and_saveexec_b64 s[90:91], vcc
	s_xor_b64 s[90:91], exec, s[90:91]
	s_cbranch_execz .LBB2_368
; %bb.367:                              ;   in Loop: Header=BB2_115 Depth=3
	v_ffbh_u32_e32 v5, v3
	v_min_u32_e32 v17, 32, v5
	v_subrev_u32_e32 v5, 29, v17
	v_lshlrev_b64 v[5:6], v5, v[58:59]
	v_bfe_u32 v2, v58, 2, 5
	v_and_b32_e32 v5, 3, v5
	v_cmp_eq_u32_e32 vcc, 0, v2
	v_sub_u32_e32 v6, 30, v17
	v_cndmask_b32_e32 v3, v3, v5, vcc
	v_lshlrev_b32_e32 v5, 24, v58
	v_cndmask_b32_e32 v2, v2, v6, vcc
	v_and_b32_e32 v5, 0x80000000, v5
	v_lshl_add_u32 v2, v2, 23, v5
	v_lshl_or_b32 v2, v3, 21, v2
	v_add_u32_e32 v2, 0x38000000, v2
                                        ; implicit-def: $vgpr3
.LBB2_368:                              ;   in Loop: Header=BB2_115 Depth=3
	s_andn2_saveexec_b64 s[90:91], s[90:91]
; %bb.369:                              ;   in Loop: Header=BB2_115 Depth=3
	v_cmp_gt_i16_sdwa vcc, sext(v58), v43 src0_sel:BYTE_0 src1_sel:DWORD
	v_cndmask_b32_e32 v2, v8, v54, vcc
	v_cmp_eq_u32_e32 vcc, 0, v3
	v_cndmask_b32_e32 v2, v55, v2, vcc
; %bb.370:                              ;   in Loop: Header=BB2_115 Depth=3
	s_or_b64 exec, exec, s[90:91]
.LBB2_371:                              ;   in Loop: Header=BB2_115 Depth=3
	s_or_b64 exec, exec, s[88:89]
.LBB2_372:                              ;   in Loop: Header=BB2_115 Depth=3
	s_or_b64 exec, exec, s[78:79]
	v_max_f32_e32 v2, v2, v2
	v_max_f32_e32 v0, v0, v0
	;; [unrolled: 1-line block ×3, first 2 shown]
.LBB2_373:                              ;   in Loop: Header=BB2_115 Depth=3
	s_andn2_saveexec_b64 s[76:77], s[76:77]
	s_cbranch_execz .LBB2_391
; %bb.374:                              ;   in Loop: Header=BB2_115 Depth=3
	v_mov_b32_e32 v2, 0
	v_mov_b32_e32 v0, 0
	s_and_saveexec_b64 s[78:79], s[20:21]
	s_cbranch_execz .LBB2_382
; %bb.375:                              ;   in Loop: Header=BB2_115 Depth=3
	v_cmp_ne_u16_sdwa s[88:89], sext(v21), s48 src0_sel:BYTE_0 src1_sel:DWORD
	v_bfrev_b32_e32 v0, 1
	s_and_saveexec_b64 s[20:21], s[88:89]
	s_cbranch_execz .LBB2_381
; %bb.376:                              ;   in Loop: Header=BB2_115 Depth=3
	v_and_b32_e32 v0, 0x7c, v21
	v_and_b32_e32 v3, 3, v21
	v_cmp_ne_u32_e32 vcc, s49, v0
                                        ; implicit-def: $vgpr0
	s_and_saveexec_b64 s[88:89], vcc
	s_xor_b64 s[88:89], exec, s[88:89]
	s_cbranch_execz .LBB2_378
; %bb.377:                              ;   in Loop: Header=BB2_115 Depth=3
	v_ffbh_u32_e32 v5, v3
	v_min_u32_e32 v17, 32, v5
	v_subrev_u32_e32 v5, 29, v17
	v_lshlrev_b64 v[5:6], v5, v[21:22]
	v_bfe_u32 v0, v21, 2, 5
	v_and_b32_e32 v5, 3, v5
	v_cmp_eq_u32_e32 vcc, 0, v0
	v_sub_u32_e32 v6, 30, v17
	v_cndmask_b32_e32 v3, v3, v5, vcc
	v_lshlrev_b32_e32 v5, 24, v21
	v_cndmask_b32_e32 v0, v0, v6, vcc
	v_and_b32_e32 v5, 0x80000000, v5
	v_lshl_add_u32 v0, v0, 23, v5
	v_lshl_or_b32 v0, v3, 21, v0
	v_add_u32_e32 v0, 0x38000000, v0
                                        ; implicit-def: $vgpr3
.LBB2_378:                              ;   in Loop: Header=BB2_115 Depth=3
	s_andn2_saveexec_b64 s[88:89], s[88:89]
; %bb.379:                              ;   in Loop: Header=BB2_115 Depth=3
	v_cmp_gt_i16_sdwa vcc, sext(v21), v43 src0_sel:BYTE_0 src1_sel:DWORD
	v_cndmask_b32_e32 v0, v8, v54, vcc
	v_cmp_eq_u32_e32 vcc, 0, v3
	v_cndmask_b32_e32 v0, v55, v0, vcc
; %bb.380:                              ;   in Loop: Header=BB2_115 Depth=3
	s_or_b64 exec, exec, s[88:89]
.LBB2_381:                              ;   in Loop: Header=BB2_115 Depth=3
	s_or_b64 exec, exec, s[20:21]
.LBB2_382:                              ;   in Loop: Header=BB2_115 Depth=3
	s_or_b64 exec, exec, s[78:79]
	v_cmp_ne_u16_sdwa s[78:79], sext(v58), v59 src0_sel:BYTE_0 src1_sel:DWORD
	s_and_saveexec_b64 s[20:21], s[78:79]
	s_cbranch_execz .LBB2_390
; %bb.383:                              ;   in Loop: Header=BB2_115 Depth=3
	v_cmp_ne_u16_sdwa s[88:89], sext(v58), s48 src0_sel:BYTE_0 src1_sel:DWORD
	v_bfrev_b32_e32 v2, 1
	s_and_saveexec_b64 s[78:79], s[88:89]
	s_cbranch_execz .LBB2_389
; %bb.384:                              ;   in Loop: Header=BB2_115 Depth=3
	v_and_b32_e32 v2, 0x7c, v58
	v_and_b32_e32 v3, 3, v58
	v_cmp_ne_u32_e32 vcc, s49, v2
                                        ; implicit-def: $vgpr2
	s_and_saveexec_b64 s[88:89], vcc
	s_xor_b64 s[88:89], exec, s[88:89]
	s_cbranch_execz .LBB2_386
; %bb.385:                              ;   in Loop: Header=BB2_115 Depth=3
	v_ffbh_u32_e32 v5, v3
	v_min_u32_e32 v17, 32, v5
	v_subrev_u32_e32 v5, 29, v17
	v_lshlrev_b64 v[5:6], v5, v[58:59]
	v_bfe_u32 v2, v58, 2, 5
	v_and_b32_e32 v5, 3, v5
	v_cmp_eq_u32_e32 vcc, 0, v2
	v_sub_u32_e32 v6, 30, v17
	v_cndmask_b32_e32 v3, v3, v5, vcc
	v_lshlrev_b32_e32 v5, 24, v58
	v_cndmask_b32_e32 v2, v2, v6, vcc
	v_and_b32_e32 v5, 0x80000000, v5
	v_lshl_add_u32 v2, v2, 23, v5
	v_lshl_or_b32 v2, v3, 21, v2
	v_add_u32_e32 v2, 0x38000000, v2
                                        ; implicit-def: $vgpr3
.LBB2_386:                              ;   in Loop: Header=BB2_115 Depth=3
	s_andn2_saveexec_b64 s[88:89], s[88:89]
; %bb.387:                              ;   in Loop: Header=BB2_115 Depth=3
	v_cmp_gt_i16_sdwa vcc, sext(v58), v43 src0_sel:BYTE_0 src1_sel:DWORD
	v_cndmask_b32_e32 v2, v8, v54, vcc
	v_cmp_eq_u32_e32 vcc, 0, v3
	v_cndmask_b32_e32 v2, v55, v2, vcc
; %bb.388:                              ;   in Loop: Header=BB2_115 Depth=3
	s_or_b64 exec, exec, s[88:89]
.LBB2_389:                              ;   in Loop: Header=BB2_115 Depth=3
	s_or_b64 exec, exec, s[78:79]
.LBB2_390:                              ;   in Loop: Header=BB2_115 Depth=3
	s_or_b64 exec, exec, s[20:21]
	v_max_f32_e32 v2, v2, v2
	v_max_f32_e32 v0, v0, v0
	v_min_f32_e32 v5, v0, v2
.LBB2_391:                              ;   in Loop: Header=BB2_115 Depth=3
	s_or_b64 exec, exec, s[76:77]
	v_and_b32_e32 v19, 0x7f800000, v5
	v_mov_b32_e32 v20, v59
	v_cmp_ne_u64_e32 vcc, s[58:59], v[19:20]
	v_and_b32_e32 v2, 0x7fffff, v5
	v_mov_b32_e32 v3, v59
                                        ; implicit-def: $vgpr22
	s_and_saveexec_b64 s[20:21], vcc
	s_xor_b64 s[76:77], exec, s[20:21]
	s_cbranch_execz .LBB2_405
; %bb.392:                              ;   in Loop: Header=BB2_115 Depth=3
	v_and_b32_e32 v19, 0x7fffffff, v5
	v_mov_b32_e32 v20, v59
	v_cmp_gt_u64_e32 vcc, s[60:61], v[19:20]
	v_and_b32_sdwa v0, v5, s50 dst_sel:DWORD dst_unused:UNUSED_PAD src0_sel:BYTE_3 src1_sel:DWORD
                                        ; implicit-def: $vgpr22
	s_and_saveexec_b64 s[20:21], vcc
	s_xor_b64 s[78:79], exec, s[20:21]
	s_cbranch_execz .LBB2_402
; %bb.393:                              ;   in Loop: Header=BB2_115 Depth=3
	v_mov_b32_e32 v22, 0
	v_cmp_ne_u32_e32 vcc, 0, v5
	s_and_saveexec_b64 s[88:89], vcc
	s_cbranch_execz .LBB2_401
; %bb.394:                              ;   in Loop: Header=BB2_115 Depth=3
	v_bfe_u32 v17, v5, 23, 8
	v_cmp_gt_u32_e64 s[20:21], s51, v17
	v_sub_u32_e32 v5, 0x71, v17
	v_cmp_eq_u32_e32 vcc, 0, v17
	v_cndmask_b32_e64 v5, 0, v5, s[20:21]
	v_cndmask_b32_e32 v19, v5, v25, vcc
	v_or_b32_e32 v6, 0x800000, v2
	v_add_u32_e32 v5, 21, v19
	v_cndmask_b32_e32 v2, v6, v2, vcc
	v_lshlrev_b64 v[5:6], v5, -1
	v_add_u32_e32 v20, 20, v19
	v_bfi_b32 v5, v5, 0, v2
	v_lshlrev_b64 v[27:28], v20, 1
	v_lshrrev_b64 v[2:3], v19, v[2:3]
	v_bfi_b32 v6, v6, 0, 0
	v_cmp_eq_u64_e64 s[20:21], v[5:6], v[27:28]
	v_mov_b32_e32 v6, v3
	v_mov_b32_e32 v5, v2
	s_and_saveexec_b64 s[90:91], s[20:21]
; %bb.395:                              ;   in Loop: Header=BB2_115 Depth=3
	v_bfe_u32 v3, v2, 21, 1
	v_add_co_u32_e64 v3, s[20:21], v2, v3
	v_add_co_u32_e64 v5, s[20:21], -1, v3
; %bb.396:                              ;   in Loop: Header=BB2_115 Depth=3
	s_or_b64 exec, exec, s[90:91]
	v_add_u32_e32 v3, 0xffffff81, v17
	v_cndmask_b32_e32 v3, v3, v48, vcc
	v_lshrrev_b32_e32 v6, 23, v2
	v_add3_u32 v17, v19, v3, v6
	v_add_u32_e32 v6, 14, v17
	v_and_b32_e32 v3, 0x1fffff, v5
	v_add_u32_e32 v2, v3, v2
	v_mov_b32_e32 v3, v59
	v_cmp_ne_u32_e32 vcc, 0, v6
                                        ; implicit-def: $vgpr5
	s_and_saveexec_b64 s[20:21], vcc
	s_xor_b64 s[20:21], exec, s[20:21]
; %bb.397:                              ;   in Loop: Header=BB2_115 Depth=3
	v_cmp_lt_u64_e32 vcc, s[62:63], v[2:3]
	v_add_u32_e32 v5, 15, v17
	v_cndmask_b32_e32 v5, v6, v5, vcc
	v_cndmask_b32_e64 v6, 0, 1, vcc
	v_lshrrev_b64 v[2:3], v6, v[2:3]
; %bb.398:                              ;   in Loop: Header=BB2_115 Depth=3
	s_andn2_saveexec_b64 s[20:21], s[20:21]
; %bb.399:                              ;   in Loop: Header=BB2_115 Depth=3
	v_bfe_u32 v5, v2, 23, 1
; %bb.400:                              ;   in Loop: Header=BB2_115 Depth=3
	s_or_b64 exec, exec, s[20:21]
	v_lshrrev_b64 v[2:3], 21, v[2:3]
	v_cmp_gt_i32_e32 vcc, 32, v5
	v_cndmask_b32_e32 v3, 0, v3, vcc
	v_cndmask_b32_e32 v2, 3, v2, vcc
	v_cmp_eq_u64_e64 s[20:21], 0, v[2:3]
	v_min_i32_e32 v3, 31, v5
	v_lshlrev_b32_e32 v3, 2, v3
	v_cmp_eq_u32_e32 vcc, 0, v5
	v_and_b32_e32 v3, 0xfc, v3
	v_and_or_b32 v2, v2, 3, v3
	s_and_b64 s[20:21], vcc, s[20:21]
	v_cndmask_b32_e64 v2, v2, 0, s[20:21]
	v_or_b32_e32 v22, v2, v0
.LBB2_401:                              ;   in Loop: Header=BB2_115 Depth=3
	s_or_b64 exec, exec, s[88:89]
                                        ; implicit-def: $vgpr0
.LBB2_402:                              ;   in Loop: Header=BB2_115 Depth=3
	s_andn2_saveexec_b64 s[20:21], s[78:79]
; %bb.403:                              ;   in Loop: Header=BB2_115 Depth=3
	v_or_b32_e32 v22, 0x7b, v0
; %bb.404:                              ;   in Loop: Header=BB2_115 Depth=3
	s_or_b64 exec, exec, s[20:21]
                                        ; implicit-def: $vgpr5
                                        ; implicit-def: $vgpr2_vgpr3
.LBB2_405:                              ;   in Loop: Header=BB2_115 Depth=3
	s_andn2_saveexec_b64 s[20:21], s[76:77]
	s_cbranch_execz .LBB2_411
; %bb.406:                              ;   in Loop: Header=BB2_115 Depth=3
	v_cmp_ne_u64_e32 vcc, 0, v[2:3]
                                        ; implicit-def: $vgpr22
	s_and_saveexec_b64 s[76:77], vcc
	s_xor_b64 s[76:77], exec, s[76:77]
; %bb.407:                              ;   in Loop: Header=BB2_115 Depth=3
	v_or_b32_sdwa v22, v5, s52 dst_sel:DWORD dst_unused:UNUSED_PAD src0_sel:BYTE_3 src1_sel:DWORD
                                        ; implicit-def: $vgpr5
; %bb.408:                              ;   in Loop: Header=BB2_115 Depth=3
	s_andn2_saveexec_b64 s[76:77], s[76:77]
; %bb.409:                              ;   in Loop: Header=BB2_115 Depth=3
	v_cmp_lt_i32_e32 vcc, -1, v5
	v_cndmask_b32_e32 v22, v49, v31, vcc
; %bb.410:                              ;   in Loop: Header=BB2_115 Depth=3
	s_or_b64 exec, exec, s[76:77]
.LBB2_411:                              ;   in Loop: Header=BB2_115 Depth=3
	s_or_b64 exec, exec, s[20:21]
	v_lshrrev_b16_e32 v2, 8, v21
	v_lshrrev_b16_e32 v19, 8, v58
	v_cmp_ne_u16_e32 vcc, 0, v2
                                        ; implicit-def: $vgpr5
	s_and_saveexec_b64 s[20:21], s[14:15]
	s_xor_b64 s[76:77], exec, s[20:21]
	s_cbranch_execz .LBB2_429
; %bb.412:                              ;   in Loop: Header=BB2_115 Depth=3
	v_mov_b32_e32 v5, 0
	v_mov_b32_e32 v0, 0
	s_and_saveexec_b64 s[78:79], vcc
	s_cbranch_execz .LBB2_420
; %bb.413:                              ;   in Loop: Header=BB2_115 Depth=3
	v_cmp_ne_u16_e64 s[20:21], s50, v2
	v_bfrev_b32_e32 v0, 1
	s_and_saveexec_b64 s[88:89], s[20:21]
	s_cbranch_execz .LBB2_419
; %bb.414:                              ;   in Loop: Header=BB2_115 Depth=3
	v_and_b32_e32 v0, 0x7c, v2
	v_and_b32_e32 v6, 3, v2
	v_cmp_ne_u32_e64 s[20:21], s49, v0
                                        ; implicit-def: $vgpr0
	s_and_saveexec_b64 s[90:91], s[20:21]
	s_xor_b64 s[90:91], exec, s[90:91]
	s_cbranch_execz .LBB2_416
; %bb.415:                              ;   in Loop: Header=BB2_115 Depth=3
	v_ffbh_u32_e32 v17, v6
	v_min_u32_e32 v17, 32, v17
	v_mov_b32_e32 v3, v59
	v_subrev_u32_e32 v20, 29, v17
	v_bfe_u32 v0, v2, 2, 5
	v_lshlrev_b64 v[2:3], v20, v[2:3]
	v_sub_u32_e32 v3, 30, v17
	v_cmp_eq_u32_e64 s[20:21], 0, v0
	v_cndmask_b32_e64 v0, v0, v3, s[20:21]
	v_lshlrev_b32_e32 v3, 16, v21
	v_and_b32_e32 v2, 3, v2
	v_and_b32_e32 v3, 0x80000000, v3
	v_cndmask_b32_e64 v2, v6, v2, s[20:21]
	v_lshl_add_u32 v0, v0, 23, v3
	v_lshl_or_b32 v0, v2, 21, v0
	v_add_u32_e32 v0, 0x38000000, v0
                                        ; implicit-def: $vgpr6
.LBB2_416:                              ;   in Loop: Header=BB2_115 Depth=3
	s_andn2_saveexec_b64 s[90:91], s[90:91]
; %bb.417:                              ;   in Loop: Header=BB2_115 Depth=3
	v_cmp_lt_i16_e64 s[20:21], -1, v21
	v_cndmask_b32_e64 v0, v8, v54, s[20:21]
	v_cmp_eq_u32_e64 s[20:21], 0, v6
	v_cndmask_b32_e64 v0, v55, v0, s[20:21]
; %bb.418:                              ;   in Loop: Header=BB2_115 Depth=3
	s_or_b64 exec, exec, s[90:91]
.LBB2_419:                              ;   in Loop: Header=BB2_115 Depth=3
	s_or_b64 exec, exec, s[88:89]
.LBB2_420:                              ;   in Loop: Header=BB2_115 Depth=3
	s_or_b64 exec, exec, s[78:79]
	v_cmp_ne_u16_e64 s[20:21], 0, v19
	s_and_saveexec_b64 s[78:79], s[20:21]
	s_cbranch_execz .LBB2_428
; %bb.421:                              ;   in Loop: Header=BB2_115 Depth=3
	v_cmp_ne_u16_e64 s[20:21], s50, v19
	v_bfrev_b32_e32 v5, 1
	s_and_saveexec_b64 s[88:89], s[20:21]
	s_cbranch_execz .LBB2_427
; %bb.422:                              ;   in Loop: Header=BB2_115 Depth=3
	v_and_b32_e32 v3, 0x7c, v19
	v_and_b32_e32 v2, 3, v19
	v_cmp_ne_u32_e64 s[20:21], s49, v3
                                        ; implicit-def: $vgpr5
	s_and_saveexec_b64 s[90:91], s[20:21]
	s_xor_b64 s[90:91], exec, s[90:91]
	s_cbranch_execz .LBB2_424
; %bb.423:                              ;   in Loop: Header=BB2_115 Depth=3
	v_ffbh_u32_e32 v5, v2
	v_min_u32_e32 v17, 32, v5
	v_mov_b32_e32 v20, v59
	v_subrev_u32_e32 v5, 29, v17
	v_lshlrev_b64 v[5:6], v5, v[19:20]
	v_bfe_u32 v3, v19, 2, 5
	v_and_b32_e32 v5, 3, v5
	v_cmp_eq_u32_e64 s[20:21], 0, v3
	v_sub_u32_e32 v6, 30, v17
	v_cndmask_b32_e64 v2, v2, v5, s[20:21]
	v_lshlrev_b32_e32 v5, 16, v58
	v_cndmask_b32_e64 v3, v3, v6, s[20:21]
	v_and_b32_e32 v5, 0x80000000, v5
	v_lshl_add_u32 v3, v3, 23, v5
	v_lshl_or_b32 v2, v2, 21, v3
	v_add_u32_e32 v5, 0x38000000, v2
                                        ; implicit-def: $vgpr2
.LBB2_424:                              ;   in Loop: Header=BB2_115 Depth=3
	s_andn2_saveexec_b64 s[90:91], s[90:91]
; %bb.425:                              ;   in Loop: Header=BB2_115 Depth=3
	v_cmp_lt_i16_e64 s[20:21], -1, v58
	v_cndmask_b32_e64 v3, v8, v54, s[20:21]
	v_cmp_eq_u32_e64 s[20:21], 0, v2
	v_cndmask_b32_e64 v5, v55, v3, s[20:21]
; %bb.426:                              ;   in Loop: Header=BB2_115 Depth=3
	s_or_b64 exec, exec, s[90:91]
.LBB2_427:                              ;   in Loop: Header=BB2_115 Depth=3
	s_or_b64 exec, exec, s[88:89]
.LBB2_428:                              ;   in Loop: Header=BB2_115 Depth=3
	s_or_b64 exec, exec, s[78:79]
	v_max_f32_e32 v2, v5, v5
	v_max_f32_e32 v0, v0, v0
	;; [unrolled: 1-line block ×3, first 2 shown]
                                        ; implicit-def: $vgpr19
                                        ; implicit-def: $vgpr2
.LBB2_429:                              ;   in Loop: Header=BB2_115 Depth=3
	s_andn2_saveexec_b64 s[20:21], s[76:77]
	s_cbranch_execz .LBB2_447
; %bb.430:                              ;   in Loop: Header=BB2_115 Depth=3
	v_mov_b32_e32 v5, 0
	v_mov_b32_e32 v0, 0
	s_and_saveexec_b64 s[76:77], vcc
	s_cbranch_execz .LBB2_438
; %bb.431:                              ;   in Loop: Header=BB2_115 Depth=3
	v_cmp_ne_u16_e32 vcc, s50, v2
	v_bfrev_b32_e32 v0, 1
	s_and_saveexec_b64 s[78:79], vcc
	s_cbranch_execz .LBB2_437
; %bb.432:                              ;   in Loop: Header=BB2_115 Depth=3
	v_and_b32_e32 v0, 0x7c, v2
	v_and_b32_e32 v6, 3, v2
	v_cmp_ne_u32_e32 vcc, s49, v0
                                        ; implicit-def: $vgpr0
	s_and_saveexec_b64 s[88:89], vcc
	s_xor_b64 s[88:89], exec, s[88:89]
	s_cbranch_execz .LBB2_434
; %bb.433:                              ;   in Loop: Header=BB2_115 Depth=3
	v_ffbh_u32_e32 v17, v6
	v_min_u32_e32 v17, 32, v17
	v_mov_b32_e32 v3, v59
	v_subrev_u32_e32 v20, 29, v17
	v_bfe_u32 v0, v2, 2, 5
	v_lshlrev_b64 v[2:3], v20, v[2:3]
	v_sub_u32_e32 v3, 30, v17
	v_cmp_eq_u32_e32 vcc, 0, v0
	v_cndmask_b32_e32 v0, v0, v3, vcc
	v_lshlrev_b32_e32 v3, 16, v21
	v_and_b32_e32 v2, 3, v2
	v_and_b32_e32 v3, 0x80000000, v3
	v_cndmask_b32_e32 v2, v6, v2, vcc
	v_lshl_add_u32 v0, v0, 23, v3
	v_lshl_or_b32 v0, v2, 21, v0
	v_add_u32_e32 v0, 0x38000000, v0
                                        ; implicit-def: $vgpr6
.LBB2_434:                              ;   in Loop: Header=BB2_115 Depth=3
	s_andn2_saveexec_b64 s[88:89], s[88:89]
; %bb.435:                              ;   in Loop: Header=BB2_115 Depth=3
	v_cmp_lt_i16_e32 vcc, -1, v21
	v_cndmask_b32_e32 v0, v8, v54, vcc
	v_cmp_eq_u32_e32 vcc, 0, v6
	v_cndmask_b32_e32 v0, v55, v0, vcc
; %bb.436:                              ;   in Loop: Header=BB2_115 Depth=3
	s_or_b64 exec, exec, s[88:89]
.LBB2_437:                              ;   in Loop: Header=BB2_115 Depth=3
	s_or_b64 exec, exec, s[78:79]
.LBB2_438:                              ;   in Loop: Header=BB2_115 Depth=3
	s_or_b64 exec, exec, s[76:77]
	v_cmp_ne_u16_e32 vcc, 0, v19
	s_and_saveexec_b64 s[76:77], vcc
	s_cbranch_execz .LBB2_446
; %bb.439:                              ;   in Loop: Header=BB2_115 Depth=3
	v_cmp_ne_u16_e32 vcc, s50, v19
	v_bfrev_b32_e32 v5, 1
	s_and_saveexec_b64 s[78:79], vcc
	s_cbranch_execz .LBB2_445
; %bb.440:                              ;   in Loop: Header=BB2_115 Depth=3
	v_and_b32_e32 v3, 0x7c, v19
	v_and_b32_e32 v2, 3, v19
	v_cmp_ne_u32_e32 vcc, s49, v3
                                        ; implicit-def: $vgpr5
	s_and_saveexec_b64 s[88:89], vcc
	s_xor_b64 s[88:89], exec, s[88:89]
	s_cbranch_execz .LBB2_442
; %bb.441:                              ;   in Loop: Header=BB2_115 Depth=3
	v_ffbh_u32_e32 v5, v2
	v_min_u32_e32 v17, 32, v5
	v_mov_b32_e32 v20, v59
	v_subrev_u32_e32 v5, 29, v17
	v_lshlrev_b64 v[5:6], v5, v[19:20]
	v_bfe_u32 v3, v19, 2, 5
	v_and_b32_e32 v5, 3, v5
	v_cmp_eq_u32_e32 vcc, 0, v3
	v_sub_u32_e32 v6, 30, v17
	v_cndmask_b32_e32 v2, v2, v5, vcc
	v_lshlrev_b32_e32 v5, 16, v58
	v_cndmask_b32_e32 v3, v3, v6, vcc
	v_and_b32_e32 v5, 0x80000000, v5
	v_lshl_add_u32 v3, v3, 23, v5
	v_lshl_or_b32 v2, v2, 21, v3
	v_add_u32_e32 v5, 0x38000000, v2
                                        ; implicit-def: $vgpr2
.LBB2_442:                              ;   in Loop: Header=BB2_115 Depth=3
	s_andn2_saveexec_b64 s[88:89], s[88:89]
; %bb.443:                              ;   in Loop: Header=BB2_115 Depth=3
	v_cmp_lt_i16_e32 vcc, -1, v58
	v_cndmask_b32_e32 v3, v8, v54, vcc
	v_cmp_eq_u32_e32 vcc, 0, v2
	v_cndmask_b32_e32 v5, v55, v3, vcc
; %bb.444:                              ;   in Loop: Header=BB2_115 Depth=3
	s_or_b64 exec, exec, s[88:89]
.LBB2_445:                              ;   in Loop: Header=BB2_115 Depth=3
	s_or_b64 exec, exec, s[78:79]
.LBB2_446:                              ;   in Loop: Header=BB2_115 Depth=3
	s_or_b64 exec, exec, s[76:77]
	v_max_f32_e32 v2, v5, v5
	v_max_f32_e32 v0, v0, v0
	v_min_f32_e32 v5, v0, v2
.LBB2_447:                              ;   in Loop: Header=BB2_115 Depth=3
	s_or_b64 exec, exec, s[20:21]
	v_and_b32_e32 v19, 0x7f800000, v5
	v_mov_b32_e32 v20, v59
	v_cmp_ne_u64_e32 vcc, s[58:59], v[19:20]
	v_and_b32_e32 v2, 0x7fffff, v5
	v_mov_b32_e32 v3, v59
                                        ; implicit-def: $vgpr19
	s_and_saveexec_b64 s[20:21], vcc
	s_xor_b64 s[76:77], exec, s[20:21]
	s_cbranch_execz .LBB2_461
; %bb.448:                              ;   in Loop: Header=BB2_115 Depth=3
	v_and_b32_e32 v19, 0x7fffffff, v5
	v_mov_b32_e32 v20, v59
	v_cmp_gt_u64_e32 vcc, s[60:61], v[19:20]
	v_and_b32_sdwa v0, v5, s50 dst_sel:DWORD dst_unused:UNUSED_PAD src0_sel:BYTE_3 src1_sel:DWORD
                                        ; implicit-def: $vgpr19
	s_and_saveexec_b64 s[20:21], vcc
	s_xor_b64 s[78:79], exec, s[20:21]
	s_cbranch_execz .LBB2_458
; %bb.449:                              ;   in Loop: Header=BB2_115 Depth=3
	v_mov_b32_e32 v19, 0
	v_cmp_ne_u32_e32 vcc, 0, v5
	s_and_saveexec_b64 s[88:89], vcc
	s_cbranch_execz .LBB2_457
; %bb.450:                              ;   in Loop: Header=BB2_115 Depth=3
	v_bfe_u32 v17, v5, 23, 8
	v_cmp_gt_u32_e64 s[20:21], s51, v17
	v_sub_u32_e32 v5, 0x71, v17
	v_cmp_eq_u32_e32 vcc, 0, v17
	v_cndmask_b32_e64 v5, 0, v5, s[20:21]
	v_cndmask_b32_e32 v19, v5, v25, vcc
	v_or_b32_e32 v6, 0x800000, v2
	v_add_u32_e32 v5, 21, v19
	v_cndmask_b32_e32 v2, v6, v2, vcc
	v_lshlrev_b64 v[5:6], v5, -1
	v_add_u32_e32 v20, 20, v19
	v_bfi_b32 v5, v5, 0, v2
	v_lshlrev_b64 v[27:28], v20, 1
	v_lshrrev_b64 v[2:3], v19, v[2:3]
	v_bfi_b32 v6, v6, 0, 0
	v_cmp_eq_u64_e64 s[20:21], v[5:6], v[27:28]
	v_mov_b32_e32 v6, v3
	v_mov_b32_e32 v5, v2
	s_and_saveexec_b64 s[90:91], s[20:21]
; %bb.451:                              ;   in Loop: Header=BB2_115 Depth=3
	v_bfe_u32 v3, v2, 21, 1
	v_add_co_u32_e64 v3, s[20:21], v2, v3
	v_add_co_u32_e64 v5, s[20:21], -1, v3
; %bb.452:                              ;   in Loop: Header=BB2_115 Depth=3
	s_or_b64 exec, exec, s[90:91]
	v_add_u32_e32 v3, 0xffffff81, v17
	v_cndmask_b32_e32 v3, v3, v48, vcc
	v_lshrrev_b32_e32 v6, 23, v2
	v_add3_u32 v17, v19, v3, v6
	v_add_u32_e32 v6, 14, v17
	v_and_b32_e32 v3, 0x1fffff, v5
	v_add_u32_e32 v2, v3, v2
	v_mov_b32_e32 v3, v59
	v_cmp_ne_u32_e32 vcc, 0, v6
                                        ; implicit-def: $vgpr5
	s_and_saveexec_b64 s[20:21], vcc
	s_xor_b64 s[20:21], exec, s[20:21]
; %bb.453:                              ;   in Loop: Header=BB2_115 Depth=3
	v_cmp_lt_u64_e32 vcc, s[62:63], v[2:3]
	v_add_u32_e32 v5, 15, v17
	v_cndmask_b32_e32 v5, v6, v5, vcc
	v_cndmask_b32_e64 v6, 0, 1, vcc
	v_lshrrev_b64 v[2:3], v6, v[2:3]
; %bb.454:                              ;   in Loop: Header=BB2_115 Depth=3
	s_andn2_saveexec_b64 s[20:21], s[20:21]
; %bb.455:                              ;   in Loop: Header=BB2_115 Depth=3
	v_bfe_u32 v5, v2, 23, 1
; %bb.456:                              ;   in Loop: Header=BB2_115 Depth=3
	s_or_b64 exec, exec, s[20:21]
	v_lshrrev_b64 v[2:3], 21, v[2:3]
	v_cmp_gt_i32_e32 vcc, 32, v5
	v_cndmask_b32_e32 v3, 0, v3, vcc
	v_cndmask_b32_e32 v2, 3, v2, vcc
	v_cmp_eq_u64_e64 s[20:21], 0, v[2:3]
	v_min_i32_e32 v3, 31, v5
	v_lshlrev_b32_e32 v3, 2, v3
	v_cmp_eq_u32_e32 vcc, 0, v5
	v_and_b32_e32 v3, 0xfc, v3
	v_and_or_b32 v2, v2, 3, v3
	s_and_b64 s[20:21], vcc, s[20:21]
	v_cndmask_b32_e64 v2, v2, 0, s[20:21]
	v_or_b32_e32 v19, v2, v0
.LBB2_457:                              ;   in Loop: Header=BB2_115 Depth=3
	s_or_b64 exec, exec, s[88:89]
                                        ; implicit-def: $vgpr0
.LBB2_458:                              ;   in Loop: Header=BB2_115 Depth=3
	s_andn2_saveexec_b64 s[20:21], s[78:79]
; %bb.459:                              ;   in Loop: Header=BB2_115 Depth=3
	v_or_b32_e32 v19, 0x7b, v0
; %bb.460:                              ;   in Loop: Header=BB2_115 Depth=3
	s_or_b64 exec, exec, s[20:21]
                                        ; implicit-def: $vgpr5
                                        ; implicit-def: $vgpr2_vgpr3
.LBB2_461:                              ;   in Loop: Header=BB2_115 Depth=3
	s_andn2_saveexec_b64 s[20:21], s[76:77]
	s_cbranch_execz .LBB2_467
; %bb.462:                              ;   in Loop: Header=BB2_115 Depth=3
	v_cmp_ne_u64_e32 vcc, 0, v[2:3]
                                        ; implicit-def: $vgpr19
	s_and_saveexec_b64 s[76:77], vcc
	s_xor_b64 s[76:77], exec, s[76:77]
; %bb.463:                              ;   in Loop: Header=BB2_115 Depth=3
	v_or_b32_sdwa v19, v5, s52 dst_sel:DWORD dst_unused:UNUSED_PAD src0_sel:BYTE_3 src1_sel:DWORD
                                        ; implicit-def: $vgpr5
; %bb.464:                              ;   in Loop: Header=BB2_115 Depth=3
	s_andn2_saveexec_b64 s[76:77], s[76:77]
; %bb.465:                              ;   in Loop: Header=BB2_115 Depth=3
	v_cmp_lt_i32_e32 vcc, -1, v5
	v_cndmask_b32_e32 v19, v49, v31, vcc
; %bb.466:                              ;   in Loop: Header=BB2_115 Depth=3
	s_or_b64 exec, exec, s[76:77]
.LBB2_467:                              ;   in Loop: Header=BB2_115 Depth=3
	s_or_b64 exec, exec, s[20:21]
	v_lshrrev_b32_e32 v17, 16, v21
	v_lshrrev_b32_e32 v0, 16, v58
	v_cmp_ne_u16_sdwa s[20:21], v17, v59 src0_sel:BYTE_0 src1_sel:DWORD
                                        ; implicit-def: $vgpr5
	s_and_saveexec_b64 s[76:77], s[14:15]
	s_xor_b64 s[76:77], exec, s[76:77]
	s_cbranch_execz .LBB2_485
; %bb.468:                              ;   in Loop: Header=BB2_115 Depth=3
	v_mov_b32_e32 v3, 0
	v_mov_b32_e32 v2, 0
	s_and_saveexec_b64 s[78:79], s[20:21]
	s_cbranch_execz .LBB2_476
; %bb.469:                              ;   in Loop: Header=BB2_115 Depth=3
	v_cmp_ne_u16_sdwa s[90:91], v17, s50 src0_sel:BYTE_0 src1_sel:DWORD
	v_bfrev_b32_e32 v2, 1
	s_and_saveexec_b64 s[88:89], s[90:91]
	s_cbranch_execz .LBB2_475
; %bb.470:                              ;   in Loop: Header=BB2_115 Depth=3
	v_and_b32_e32 v2, 0x7c0000, v21
	v_bfe_u32 v5, v21, 16, 2
	v_cmp_ne_u32_e32 vcc, s53, v2
                                        ; implicit-def: $vgpr2
	s_and_saveexec_b64 s[90:91], vcc
	s_xor_b64 s[90:91], exec, s[90:91]
	s_cbranch_execz .LBB2_472
; %bb.471:                              ;   in Loop: Header=BB2_115 Depth=3
	v_ffbh_u32_e32 v6, v5
	v_min_u32_e32 v6, 32, v6
	v_bfe_u32 v2, v21, 18, 5
	v_subrev_u32_e32 v20, 29, v6
	v_lshlrev_b64 v[27:28], v20, v[17:18]
	v_sub_u32_e32 v6, 30, v6
	v_cmp_eq_u32_e32 vcc, 0, v2
	v_cndmask_b32_e32 v2, v2, v6, vcc
	v_lshlrev_b32_e32 v6, 24, v17
	v_and_b32_e32 v20, 3, v27
	v_and_b32_e32 v6, 0x80000000, v6
	v_cndmask_b32_e32 v5, v5, v20, vcc
	v_lshl_add_u32 v2, v2, 23, v6
	v_lshl_or_b32 v2, v5, 21, v2
	v_add_u32_e32 v2, 0x38000000, v2
                                        ; implicit-def: $vgpr5
                                        ; implicit-def: $vgpr17
.LBB2_472:                              ;   in Loop: Header=BB2_115 Depth=3
	s_andn2_saveexec_b64 s[90:91], s[90:91]
; %bb.473:                              ;   in Loop: Header=BB2_115 Depth=3
	v_cmp_gt_i16_sdwa vcc, sext(v17), v43 src0_sel:BYTE_0 src1_sel:DWORD
	v_cndmask_b32_e32 v2, v8, v54, vcc
	v_cmp_eq_u32_e32 vcc, 0, v5
	v_cndmask_b32_e32 v2, v55, v2, vcc
; %bb.474:                              ;   in Loop: Header=BB2_115 Depth=3
	s_or_b64 exec, exec, s[90:91]
.LBB2_475:                              ;   in Loop: Header=BB2_115 Depth=3
	s_or_b64 exec, exec, s[88:89]
.LBB2_476:                              ;   in Loop: Header=BB2_115 Depth=3
	s_or_b64 exec, exec, s[78:79]
	v_and_b32_sdwa v5, v58, s39 dst_sel:DWORD dst_unused:UNUSED_PAD src0_sel:WORD_1 src1_sel:DWORD
	v_cmp_ne_u16_e32 vcc, 0, v5
	s_and_saveexec_b64 s[78:79], vcc
	s_cbranch_execz .LBB2_484
; %bb.477:                              ;   in Loop: Header=BB2_115 Depth=3
	v_cmp_ne_u16_e32 vcc, s50, v5
	v_bfrev_b32_e32 v3, 1
	s_and_saveexec_b64 s[88:89], vcc
	s_cbranch_execz .LBB2_483
; %bb.478:                              ;   in Loop: Header=BB2_115 Depth=3
	v_and_b32_e32 v3, 0x7c0000, v58
	v_bfe_u32 v5, v58, 16, 2
	v_cmp_ne_u32_e32 vcc, s53, v3
                                        ; implicit-def: $vgpr3
	s_and_saveexec_b64 s[90:91], vcc
	s_xor_b64 s[90:91], exec, s[90:91]
	s_cbranch_execz .LBB2_480
; %bb.479:                              ;   in Loop: Header=BB2_115 Depth=3
	v_ffbh_u32_e32 v6, v5
	v_min_u32_e32 v6, 32, v6
	v_subrev_u32_e32 v17, 29, v6
	v_bfe_u32 v3, v58, 18, 5
	v_lshlrev_b64 v[27:28], v17, v[0:1]
	v_sub_u32_e32 v6, 30, v6
	v_cmp_eq_u32_e32 vcc, 0, v3
	v_lshlrev_b32_e32 v0, 24, v0
	v_and_b32_e32 v17, 3, v27
	v_cndmask_b32_e32 v3, v3, v6, vcc
	v_and_b32_e32 v0, 0x80000000, v0
	v_cndmask_b32_e32 v5, v5, v17, vcc
	v_lshl_add_u32 v0, v3, 23, v0
	v_lshl_or_b32 v0, v5, 21, v0
	v_add_u32_e32 v3, 0x38000000, v0
                                        ; implicit-def: $vgpr5
                                        ; implicit-def: $vgpr0
.LBB2_480:                              ;   in Loop: Header=BB2_115 Depth=3
	s_andn2_saveexec_b64 s[90:91], s[90:91]
; %bb.481:                              ;   in Loop: Header=BB2_115 Depth=3
	v_cmp_gt_i16_sdwa vcc, sext(v0), v43 src0_sel:BYTE_0 src1_sel:DWORD
	v_cndmask_b32_e32 v0, v8, v54, vcc
	v_cmp_eq_u32_e32 vcc, 0, v5
	v_cndmask_b32_e32 v3, v55, v0, vcc
; %bb.482:                              ;   in Loop: Header=BB2_115 Depth=3
	s_or_b64 exec, exec, s[90:91]
.LBB2_483:                              ;   in Loop: Header=BB2_115 Depth=3
	s_or_b64 exec, exec, s[88:89]
.LBB2_484:                              ;   in Loop: Header=BB2_115 Depth=3
	s_or_b64 exec, exec, s[78:79]
	v_max_f32_e32 v0, v3, v3
	v_max_f32_e32 v2, v2, v2
	;; [unrolled: 1-line block ×3, first 2 shown]
                                        ; implicit-def: $vgpr17
                                        ; implicit-def: $vgpr0
.LBB2_485:                              ;   in Loop: Header=BB2_115 Depth=3
	s_andn2_saveexec_b64 s[76:77], s[76:77]
	s_cbranch_execz .LBB2_503
; %bb.486:                              ;   in Loop: Header=BB2_115 Depth=3
	v_mov_b32_e32 v3, 0
	v_mov_b32_e32 v2, 0
	s_and_saveexec_b64 s[78:79], s[20:21]
	s_cbranch_execz .LBB2_494
; %bb.487:                              ;   in Loop: Header=BB2_115 Depth=3
	v_cmp_ne_u16_sdwa s[88:89], v17, s50 src0_sel:BYTE_0 src1_sel:DWORD
	v_bfrev_b32_e32 v2, 1
	s_and_saveexec_b64 s[20:21], s[88:89]
	s_cbranch_execz .LBB2_493
; %bb.488:                              ;   in Loop: Header=BB2_115 Depth=3
	v_and_b32_e32 v2, 0x7c0000, v21
	v_bfe_u32 v5, v21, 16, 2
	v_cmp_ne_u32_e32 vcc, s53, v2
                                        ; implicit-def: $vgpr2
	s_and_saveexec_b64 s[88:89], vcc
	s_xor_b64 s[88:89], exec, s[88:89]
	s_cbranch_execz .LBB2_490
; %bb.489:                              ;   in Loop: Header=BB2_115 Depth=3
	v_ffbh_u32_e32 v6, v5
	v_min_u32_e32 v6, 32, v6
	v_bfe_u32 v2, v21, 18, 5
	v_subrev_u32_e32 v20, 29, v6
	v_lshlrev_b64 v[27:28], v20, v[17:18]
	v_sub_u32_e32 v6, 30, v6
	v_cmp_eq_u32_e32 vcc, 0, v2
	v_cndmask_b32_e32 v2, v2, v6, vcc
	v_lshlrev_b32_e32 v6, 24, v17
	v_and_b32_e32 v20, 3, v27
	v_and_b32_e32 v6, 0x80000000, v6
	v_cndmask_b32_e32 v5, v5, v20, vcc
	v_lshl_add_u32 v2, v2, 23, v6
	v_lshl_or_b32 v2, v5, 21, v2
	v_add_u32_e32 v2, 0x38000000, v2
                                        ; implicit-def: $vgpr5
                                        ; implicit-def: $vgpr17
.LBB2_490:                              ;   in Loop: Header=BB2_115 Depth=3
	s_andn2_saveexec_b64 s[88:89], s[88:89]
; %bb.491:                              ;   in Loop: Header=BB2_115 Depth=3
	v_cmp_gt_i16_sdwa vcc, sext(v17), v43 src0_sel:BYTE_0 src1_sel:DWORD
	v_cndmask_b32_e32 v2, v8, v54, vcc
	v_cmp_eq_u32_e32 vcc, 0, v5
	v_cndmask_b32_e32 v2, v55, v2, vcc
; %bb.492:                              ;   in Loop: Header=BB2_115 Depth=3
	s_or_b64 exec, exec, s[88:89]
.LBB2_493:                              ;   in Loop: Header=BB2_115 Depth=3
	s_or_b64 exec, exec, s[20:21]
.LBB2_494:                              ;   in Loop: Header=BB2_115 Depth=3
	s_or_b64 exec, exec, s[78:79]
	v_and_b32_sdwa v5, v58, s39 dst_sel:DWORD dst_unused:UNUSED_PAD src0_sel:WORD_1 src1_sel:DWORD
	v_cmp_ne_u16_e32 vcc, 0, v5
	s_and_saveexec_b64 s[20:21], vcc
	s_cbranch_execz .LBB2_502
; %bb.495:                              ;   in Loop: Header=BB2_115 Depth=3
	v_cmp_ne_u16_e32 vcc, s50, v5
	v_bfrev_b32_e32 v3, 1
	s_and_saveexec_b64 s[78:79], vcc
	s_cbranch_execz .LBB2_501
; %bb.496:                              ;   in Loop: Header=BB2_115 Depth=3
	v_and_b32_e32 v3, 0x7c0000, v58
	v_bfe_u32 v5, v58, 16, 2
	v_cmp_ne_u32_e32 vcc, s53, v3
                                        ; implicit-def: $vgpr3
	s_and_saveexec_b64 s[88:89], vcc
	s_xor_b64 s[88:89], exec, s[88:89]
	s_cbranch_execz .LBB2_498
; %bb.497:                              ;   in Loop: Header=BB2_115 Depth=3
	v_ffbh_u32_e32 v6, v5
	v_min_u32_e32 v6, 32, v6
	v_subrev_u32_e32 v17, 29, v6
	v_bfe_u32 v3, v58, 18, 5
	v_lshlrev_b64 v[27:28], v17, v[0:1]
	v_sub_u32_e32 v6, 30, v6
	v_cmp_eq_u32_e32 vcc, 0, v3
	v_lshlrev_b32_e32 v0, 24, v0
	v_and_b32_e32 v17, 3, v27
	v_cndmask_b32_e32 v3, v3, v6, vcc
	v_and_b32_e32 v0, 0x80000000, v0
	v_cndmask_b32_e32 v5, v5, v17, vcc
	v_lshl_add_u32 v0, v3, 23, v0
	v_lshl_or_b32 v0, v5, 21, v0
	v_add_u32_e32 v3, 0x38000000, v0
                                        ; implicit-def: $vgpr5
                                        ; implicit-def: $vgpr0
.LBB2_498:                              ;   in Loop: Header=BB2_115 Depth=3
	s_andn2_saveexec_b64 s[88:89], s[88:89]
; %bb.499:                              ;   in Loop: Header=BB2_115 Depth=3
	v_cmp_gt_i16_sdwa vcc, sext(v0), v43 src0_sel:BYTE_0 src1_sel:DWORD
	v_cndmask_b32_e32 v0, v8, v54, vcc
	v_cmp_eq_u32_e32 vcc, 0, v5
	v_cndmask_b32_e32 v3, v55, v0, vcc
; %bb.500:                              ;   in Loop: Header=BB2_115 Depth=3
	s_or_b64 exec, exec, s[88:89]
.LBB2_501:                              ;   in Loop: Header=BB2_115 Depth=3
	s_or_b64 exec, exec, s[78:79]
.LBB2_502:                              ;   in Loop: Header=BB2_115 Depth=3
	s_or_b64 exec, exec, s[20:21]
	v_max_f32_e32 v0, v3, v3
	v_max_f32_e32 v2, v2, v2
	v_min_f32_e32 v5, v2, v0
.LBB2_503:                              ;   in Loop: Header=BB2_115 Depth=3
	s_or_b64 exec, exec, s[76:77]
	v_and_b32_e32 v27, 0x7f800000, v5
	v_mov_b32_e32 v28, v59
	v_cmp_ne_u64_e32 vcc, s[58:59], v[27:28]
	v_and_b32_e32 v2, 0x7fffff, v5
	v_mov_b32_e32 v3, v59
                                        ; implicit-def: $vgpr24
	s_and_saveexec_b64 s[20:21], vcc
	s_xor_b64 s[76:77], exec, s[20:21]
	s_cbranch_execz .LBB2_517
; %bb.504:                              ;   in Loop: Header=BB2_115 Depth=3
	v_and_b32_e32 v27, 0x7fffffff, v5
	v_mov_b32_e32 v28, v59
	v_cmp_gt_u64_e32 vcc, s[60:61], v[27:28]
	v_and_b32_sdwa v0, v5, s50 dst_sel:DWORD dst_unused:UNUSED_PAD src0_sel:BYTE_3 src1_sel:DWORD
                                        ; implicit-def: $vgpr24
	s_and_saveexec_b64 s[20:21], vcc
	s_xor_b64 s[78:79], exec, s[20:21]
	s_cbranch_execz .LBB2_514
; %bb.505:                              ;   in Loop: Header=BB2_115 Depth=3
	v_mov_b32_e32 v24, 0
	v_cmp_ne_u32_e32 vcc, 0, v5
	s_and_saveexec_b64 s[88:89], vcc
	s_cbranch_execz .LBB2_513
; %bb.506:                              ;   in Loop: Header=BB2_115 Depth=3
	v_bfe_u32 v17, v5, 23, 8
	v_cmp_gt_u32_e64 s[20:21], s51, v17
	v_sub_u32_e32 v5, 0x71, v17
	v_cmp_eq_u32_e32 vcc, 0, v17
	v_cndmask_b32_e64 v5, 0, v5, s[20:21]
	v_cndmask_b32_e32 v20, v5, v25, vcc
	v_or_b32_e32 v6, 0x800000, v2
	v_add_u32_e32 v5, 21, v20
	v_cndmask_b32_e32 v2, v6, v2, vcc
	v_lshlrev_b64 v[5:6], v5, -1
	v_add_u32_e32 v24, 20, v20
	v_bfi_b32 v5, v5, 0, v2
	v_lshlrev_b64 v[27:28], v24, 1
	v_lshrrev_b64 v[2:3], v20, v[2:3]
	v_bfi_b32 v6, v6, 0, 0
	v_cmp_eq_u64_e64 s[20:21], v[5:6], v[27:28]
	v_mov_b32_e32 v6, v3
	v_mov_b32_e32 v5, v2
	s_and_saveexec_b64 s[90:91], s[20:21]
; %bb.507:                              ;   in Loop: Header=BB2_115 Depth=3
	v_bfe_u32 v3, v2, 21, 1
	v_add_co_u32_e64 v3, s[20:21], v2, v3
	v_add_co_u32_e64 v5, s[20:21], -1, v3
; %bb.508:                              ;   in Loop: Header=BB2_115 Depth=3
	s_or_b64 exec, exec, s[90:91]
	v_add_u32_e32 v3, 0xffffff81, v17
	v_cndmask_b32_e32 v3, v3, v48, vcc
	v_lshrrev_b32_e32 v6, 23, v2
	v_add3_u32 v17, v20, v3, v6
	v_add_u32_e32 v6, 14, v17
	v_and_b32_e32 v3, 0x1fffff, v5
	v_add_u32_e32 v2, v3, v2
	v_mov_b32_e32 v3, v59
	v_cmp_ne_u32_e32 vcc, 0, v6
                                        ; implicit-def: $vgpr5
	s_and_saveexec_b64 s[20:21], vcc
	s_xor_b64 s[20:21], exec, s[20:21]
; %bb.509:                              ;   in Loop: Header=BB2_115 Depth=3
	v_cmp_lt_u64_e32 vcc, s[62:63], v[2:3]
	v_add_u32_e32 v5, 15, v17
	v_cndmask_b32_e32 v5, v6, v5, vcc
	v_cndmask_b32_e64 v6, 0, 1, vcc
	v_lshrrev_b64 v[2:3], v6, v[2:3]
; %bb.510:                              ;   in Loop: Header=BB2_115 Depth=3
	s_andn2_saveexec_b64 s[20:21], s[20:21]
; %bb.511:                              ;   in Loop: Header=BB2_115 Depth=3
	v_bfe_u32 v5, v2, 23, 1
; %bb.512:                              ;   in Loop: Header=BB2_115 Depth=3
	s_or_b64 exec, exec, s[20:21]
	v_lshrrev_b64 v[2:3], 21, v[2:3]
	v_cmp_gt_i32_e32 vcc, 32, v5
	v_cndmask_b32_e32 v3, 0, v3, vcc
	v_cndmask_b32_e32 v2, 3, v2, vcc
	v_cmp_eq_u64_e64 s[20:21], 0, v[2:3]
	v_min_i32_e32 v3, 31, v5
	v_lshlrev_b32_e32 v3, 2, v3
	v_cmp_eq_u32_e32 vcc, 0, v5
	v_and_b32_e32 v3, 0xfc, v3
	v_and_or_b32 v2, v2, 3, v3
	s_and_b64 s[20:21], vcc, s[20:21]
	v_cndmask_b32_e64 v2, v2, 0, s[20:21]
	v_or_b32_e32 v24, v2, v0
.LBB2_513:                              ;   in Loop: Header=BB2_115 Depth=3
	s_or_b64 exec, exec, s[88:89]
                                        ; implicit-def: $vgpr0
.LBB2_514:                              ;   in Loop: Header=BB2_115 Depth=3
	s_andn2_saveexec_b64 s[20:21], s[78:79]
; %bb.515:                              ;   in Loop: Header=BB2_115 Depth=3
	v_or_b32_e32 v24, 0x7b, v0
; %bb.516:                              ;   in Loop: Header=BB2_115 Depth=3
	s_or_b64 exec, exec, s[20:21]
                                        ; implicit-def: $vgpr5
                                        ; implicit-def: $vgpr2_vgpr3
.LBB2_517:                              ;   in Loop: Header=BB2_115 Depth=3
	s_andn2_saveexec_b64 s[20:21], s[76:77]
	s_cbranch_execz .LBB2_523
; %bb.518:                              ;   in Loop: Header=BB2_115 Depth=3
	v_cmp_ne_u64_e32 vcc, 0, v[2:3]
                                        ; implicit-def: $vgpr24
	s_and_saveexec_b64 s[76:77], vcc
	s_xor_b64 s[76:77], exec, s[76:77]
; %bb.519:                              ;   in Loop: Header=BB2_115 Depth=3
	v_or_b32_sdwa v24, v5, s52 dst_sel:DWORD dst_unused:UNUSED_PAD src0_sel:BYTE_3 src1_sel:DWORD
                                        ; implicit-def: $vgpr5
; %bb.520:                              ;   in Loop: Header=BB2_115 Depth=3
	s_andn2_saveexec_b64 s[76:77], s[76:77]
; %bb.521:                              ;   in Loop: Header=BB2_115 Depth=3
	v_cmp_lt_i32_e32 vcc, -1, v5
	v_cndmask_b32_e32 v24, v49, v31, vcc
; %bb.522:                              ;   in Loop: Header=BB2_115 Depth=3
	s_or_b64 exec, exec, s[76:77]
.LBB2_523:                              ;   in Loop: Header=BB2_115 Depth=3
	s_or_b64 exec, exec, s[20:21]
	v_mov_b32_e32 v20, v59
	v_cmp_lt_u64_e32 vcc, s[56:57], v[20:21]
	v_lshrrev_b32_e32 v17, 24, v21
	v_lshrrev_b32_e32 v0, 24, v58
	v_mov_b32_e32 v27, v59
	v_mov_b32_e32 v28, v58
                                        ; implicit-def: $vgpr2
	s_and_saveexec_b64 s[20:21], s[14:15]
	s_xor_b64 s[76:77], exec, s[20:21]
	s_cbranch_execz .LBB2_541
; %bb.524:                              ;   in Loop: Header=BB2_115 Depth=3
	v_mov_b32_e32 v3, 0
	v_mov_b32_e32 v2, 0
	s_and_saveexec_b64 s[78:79], vcc
	s_cbranch_execz .LBB2_532
; %bb.525:                              ;   in Loop: Header=BB2_115 Depth=3
	v_cmp_ne_u32_e64 s[20:21], s50, v17
	v_bfrev_b32_e32 v2, 1
	s_and_saveexec_b64 s[88:89], s[20:21]
	s_cbranch_execz .LBB2_531
; %bb.526:                              ;   in Loop: Header=BB2_115 Depth=3
	v_and_b32_e32 v2, 0x7c000000, v21
	v_bfe_u32 v5, v21, 24, 2
	v_cmp_ne_u32_e64 s[20:21], s54, v2
                                        ; implicit-def: $vgpr2
	s_and_saveexec_b64 s[90:91], s[20:21]
	s_xor_b64 s[90:91], exec, s[90:91]
	s_cbranch_execz .LBB2_528
; %bb.527:                              ;   in Loop: Header=BB2_115 Depth=3
	v_ffbh_u32_e32 v6, v5
	v_min_u32_e32 v6, 32, v6
	v_subrev_u32_e32 v20, 29, v6
	v_bfe_u32 v2, v21, 26, 5
	v_lshlrev_b64 v[38:39], v20, v[17:18]
	v_sub_u32_e32 v6, 30, v6
	v_cmp_eq_u32_e64 s[20:21], 0, v2
	v_and_b32_e32 v17, 3, v38
	v_cndmask_b32_e64 v2, v2, v6, s[20:21]
	v_and_b32_e32 v6, 0x80000000, v21
	v_cndmask_b32_e64 v5, v5, v17, s[20:21]
	v_lshl_add_u32 v2, v2, 23, v6
	v_lshl_or_b32 v2, v5, 21, v2
	v_add_u32_e32 v2, 0x38000000, v2
                                        ; implicit-def: $vgpr5
                                        ; implicit-def: $vgpr20_vgpr21
.LBB2_528:                              ;   in Loop: Header=BB2_115 Depth=3
	s_andn2_saveexec_b64 s[90:91], s[90:91]
; %bb.529:                              ;   in Loop: Header=BB2_115 Depth=3
	v_cmp_lt_i64_e64 s[20:21], -1, v[20:21]
	v_cndmask_b32_e64 v2, v8, v54, s[20:21]
	v_cmp_eq_u32_e64 s[20:21], 0, v5
	v_cndmask_b32_e64 v2, v55, v2, s[20:21]
; %bb.530:                              ;   in Loop: Header=BB2_115 Depth=3
	s_or_b64 exec, exec, s[90:91]
.LBB2_531:                              ;   in Loop: Header=BB2_115 Depth=3
	s_or_b64 exec, exec, s[88:89]
.LBB2_532:                              ;   in Loop: Header=BB2_115 Depth=3
	s_or_b64 exec, exec, s[78:79]
	v_cmp_lt_u32_e64 s[20:21], s57, v58
	s_and_saveexec_b64 s[78:79], s[20:21]
	s_cbranch_execz .LBB2_540
; %bb.533:                              ;   in Loop: Header=BB2_115 Depth=3
	v_cmp_ne_u32_e64 s[20:21], s50, v0
	v_bfrev_b32_e32 v3, 1
	s_and_saveexec_b64 s[88:89], s[20:21]
	s_cbranch_execz .LBB2_539
; %bb.534:                              ;   in Loop: Header=BB2_115 Depth=3
	v_and_b32_e32 v3, 0x7c000000, v58
	v_bfe_u32 v5, v58, 24, 2
	v_cmp_ne_u32_e64 s[20:21], s54, v3
                                        ; implicit-def: $vgpr3
	s_and_saveexec_b64 s[90:91], s[20:21]
	s_xor_b64 s[90:91], exec, s[90:91]
	s_cbranch_execz .LBB2_536
; %bb.535:                              ;   in Loop: Header=BB2_115 Depth=3
	v_ffbh_u32_e32 v6, v5
	v_min_u32_e32 v6, 32, v6
	v_subrev_u32_e32 v17, 29, v6
	v_lshlrev_b64 v[20:21], v17, v[0:1]
	v_bfe_u32 v3, v58, 26, 5
	v_sub_u32_e32 v0, 30, v6
	v_and_b32_e32 v6, 3, v20
	v_cmp_eq_u32_e64 s[20:21], 0, v3
	v_cndmask_b32_e64 v0, v3, v0, s[20:21]
	v_cndmask_b32_e64 v3, v5, v6, s[20:21]
	v_and_b32_e32 v5, 0x80000000, v58
	v_lshl_add_u32 v0, v0, 23, v5
	v_lshl_or_b32 v0, v3, 21, v0
	v_add_u32_e32 v3, 0x38000000, v0
                                        ; implicit-def: $vgpr5
                                        ; implicit-def: $vgpr27_vgpr28
.LBB2_536:                              ;   in Loop: Header=BB2_115 Depth=3
	s_andn2_saveexec_b64 s[90:91], s[90:91]
; %bb.537:                              ;   in Loop: Header=BB2_115 Depth=3
	v_cmp_lt_i64_e64 s[20:21], -1, v[27:28]
	v_cndmask_b32_e64 v0, v8, v54, s[20:21]
	v_cmp_eq_u32_e64 s[20:21], 0, v5
	v_cndmask_b32_e64 v3, v55, v0, s[20:21]
; %bb.538:                              ;   in Loop: Header=BB2_115 Depth=3
	s_or_b64 exec, exec, s[90:91]
.LBB2_539:                              ;   in Loop: Header=BB2_115 Depth=3
	s_or_b64 exec, exec, s[88:89]
.LBB2_540:                              ;   in Loop: Header=BB2_115 Depth=3
	s_or_b64 exec, exec, s[78:79]
	v_max_f32_e32 v0, v3, v3
	v_max_f32_e32 v2, v2, v2
	;; [unrolled: 1-line block ×3, first 2 shown]
                                        ; implicit-def: $vgpr0
                                        ; implicit-def: $vgpr17
                                        ; implicit-def: $vgpr27_vgpr28
                                        ; implicit-def: $vgpr20_vgpr21
.LBB2_541:                              ;   in Loop: Header=BB2_115 Depth=3
	s_andn2_saveexec_b64 s[20:21], s[76:77]
	s_cbranch_execz .LBB2_559
; %bb.542:                              ;   in Loop: Header=BB2_115 Depth=3
	v_mov_b32_e32 v3, 0
	v_mov_b32_e32 v2, 0
	s_and_saveexec_b64 s[76:77], vcc
	s_cbranch_execz .LBB2_550
; %bb.543:                              ;   in Loop: Header=BB2_115 Depth=3
	v_cmp_ne_u32_e32 vcc, s50, v17
	v_bfrev_b32_e32 v2, 1
	s_and_saveexec_b64 s[78:79], vcc
	s_cbranch_execz .LBB2_549
; %bb.544:                              ;   in Loop: Header=BB2_115 Depth=3
	v_and_b32_e32 v2, 0x7c000000, v21
	v_bfe_u32 v5, v21, 24, 2
	v_cmp_ne_u32_e32 vcc, s54, v2
                                        ; implicit-def: $vgpr2
	s_and_saveexec_b64 s[88:89], vcc
	s_xor_b64 s[88:89], exec, s[88:89]
	s_cbranch_execz .LBB2_546
; %bb.545:                              ;   in Loop: Header=BB2_115 Depth=3
	v_ffbh_u32_e32 v6, v5
	v_min_u32_e32 v6, 32, v6
	v_subrev_u32_e32 v20, 29, v6
	v_bfe_u32 v2, v21, 26, 5
	v_lshlrev_b64 v[38:39], v20, v[17:18]
	v_sub_u32_e32 v6, 30, v6
	v_cmp_eq_u32_e32 vcc, 0, v2
	v_and_b32_e32 v17, 3, v38
	v_cndmask_b32_e32 v2, v2, v6, vcc
	v_and_b32_e32 v6, 0x80000000, v21
	v_cndmask_b32_e32 v5, v5, v17, vcc
	v_lshl_add_u32 v2, v2, 23, v6
	v_lshl_or_b32 v2, v5, 21, v2
	v_add_u32_e32 v2, 0x38000000, v2
                                        ; implicit-def: $vgpr5
                                        ; implicit-def: $vgpr20_vgpr21
.LBB2_546:                              ;   in Loop: Header=BB2_115 Depth=3
	s_andn2_saveexec_b64 s[88:89], s[88:89]
; %bb.547:                              ;   in Loop: Header=BB2_115 Depth=3
	v_cmp_lt_i64_e32 vcc, -1, v[20:21]
	v_cndmask_b32_e32 v2, v8, v54, vcc
	v_cmp_eq_u32_e32 vcc, 0, v5
	v_cndmask_b32_e32 v2, v55, v2, vcc
; %bb.548:                              ;   in Loop: Header=BB2_115 Depth=3
	s_or_b64 exec, exec, s[88:89]
.LBB2_549:                              ;   in Loop: Header=BB2_115 Depth=3
	s_or_b64 exec, exec, s[78:79]
.LBB2_550:                              ;   in Loop: Header=BB2_115 Depth=3
	s_or_b64 exec, exec, s[76:77]
	v_cmp_lt_u32_e32 vcc, s57, v58
	s_and_saveexec_b64 s[76:77], vcc
	s_cbranch_execz .LBB2_558
; %bb.551:                              ;   in Loop: Header=BB2_115 Depth=3
	v_cmp_ne_u32_e32 vcc, s50, v0
	v_bfrev_b32_e32 v3, 1
	s_and_saveexec_b64 s[78:79], vcc
	s_cbranch_execz .LBB2_557
; %bb.552:                              ;   in Loop: Header=BB2_115 Depth=3
	v_and_b32_e32 v3, 0x7c000000, v58
	v_bfe_u32 v5, v58, 24, 2
	v_cmp_ne_u32_e32 vcc, s54, v3
                                        ; implicit-def: $vgpr3
	s_and_saveexec_b64 s[88:89], vcc
	s_xor_b64 s[88:89], exec, s[88:89]
	s_cbranch_execz .LBB2_554
; %bb.553:                              ;   in Loop: Header=BB2_115 Depth=3
	v_ffbh_u32_e32 v6, v5
	v_min_u32_e32 v6, 32, v6
	v_subrev_u32_e32 v17, 29, v6
	v_lshlrev_b64 v[20:21], v17, v[0:1]
	v_bfe_u32 v3, v58, 26, 5
	v_sub_u32_e32 v0, 30, v6
	v_and_b32_e32 v6, 3, v20
	v_cmp_eq_u32_e32 vcc, 0, v3
	v_cndmask_b32_e32 v0, v3, v0, vcc
	v_cndmask_b32_e32 v3, v5, v6, vcc
	v_and_b32_e32 v5, 0x80000000, v58
	v_lshl_add_u32 v0, v0, 23, v5
	v_lshl_or_b32 v0, v3, 21, v0
	v_add_u32_e32 v3, 0x38000000, v0
                                        ; implicit-def: $vgpr5
                                        ; implicit-def: $vgpr27_vgpr28
.LBB2_554:                              ;   in Loop: Header=BB2_115 Depth=3
	s_andn2_saveexec_b64 s[88:89], s[88:89]
; %bb.555:                              ;   in Loop: Header=BB2_115 Depth=3
	v_cmp_lt_i64_e32 vcc, -1, v[27:28]
	v_cndmask_b32_e32 v0, v8, v54, vcc
	v_cmp_eq_u32_e32 vcc, 0, v5
	v_cndmask_b32_e32 v3, v55, v0, vcc
; %bb.556:                              ;   in Loop: Header=BB2_115 Depth=3
	s_or_b64 exec, exec, s[88:89]
.LBB2_557:                              ;   in Loop: Header=BB2_115 Depth=3
	s_or_b64 exec, exec, s[78:79]
.LBB2_558:                              ;   in Loop: Header=BB2_115 Depth=3
	s_or_b64 exec, exec, s[76:77]
	v_max_f32_e32 v0, v3, v3
	v_max_f32_e32 v2, v2, v2
	v_min_f32_e32 v2, v2, v0
.LBB2_559:                              ;   in Loop: Header=BB2_115 Depth=3
	s_or_b64 exec, exec, s[20:21]
	v_and_b32_e32 v5, 0x7f800000, v2
	v_mov_b32_e32 v6, v59
	v_cmp_ne_u64_e32 vcc, s[58:59], v[5:6]
	v_and_b32_e32 v58, 0x7fffff, v2
                                        ; implicit-def: $vgpr3
	s_and_saveexec_b64 s[20:21], vcc
	s_xor_b64 s[76:77], exec, s[20:21]
	s_cbranch_execz .LBB2_573
; %bb.560:                              ;   in Loop: Header=BB2_115 Depth=3
	v_and_b32_e32 v5, 0x7fffffff, v2
	v_mov_b32_e32 v6, v59
	v_cmp_gt_u64_e32 vcc, s[60:61], v[5:6]
	v_and_b32_sdwa v0, v2, s50 dst_sel:DWORD dst_unused:UNUSED_PAD src0_sel:BYTE_3 src1_sel:DWORD
                                        ; implicit-def: $vgpr3
	s_and_saveexec_b64 s[20:21], vcc
	s_xor_b64 s[78:79], exec, s[20:21]
	s_cbranch_execz .LBB2_570
; %bb.561:                              ;   in Loop: Header=BB2_115 Depth=3
	v_mov_b32_e32 v3, 0
	v_cmp_ne_u32_e32 vcc, 0, v2
	s_and_saveexec_b64 s[88:89], vcc
	s_cbranch_execz .LBB2_569
; %bb.562:                              ;   in Loop: Header=BB2_115 Depth=3
	v_bfe_u32 v17, v2, 23, 8
	v_cmp_gt_u32_e64 s[20:21], s51, v17
	v_sub_u32_e32 v2, 0x71, v17
	v_cmp_eq_u32_e32 vcc, 0, v17
	v_cndmask_b32_e64 v2, 0, v2, s[20:21]
	v_cndmask_b32_e32 v20, v2, v25, vcc
	v_or_b32_e32 v3, 0x800000, v58
	v_add_u32_e32 v2, 21, v20
	v_cndmask_b32_e32 v58, v3, v58, vcc
	v_lshlrev_b64 v[2:3], v2, -1
	v_add_u32_e32 v5, 20, v20
	v_lshlrev_b64 v[5:6], v5, 1
	v_bfi_b32 v3, v3, 0, 0
	v_bfi_b32 v2, v2, 0, v58
	v_cmp_eq_u64_e64 s[20:21], v[2:3], v[5:6]
	v_lshrrev_b64 v[2:3], v20, v[58:59]
	v_mov_b32_e32 v6, v3
	v_mov_b32_e32 v5, v2
	s_and_saveexec_b64 s[90:91], s[20:21]
; %bb.563:                              ;   in Loop: Header=BB2_115 Depth=3
	v_bfe_u32 v3, v2, 21, 1
	v_add_co_u32_e64 v3, s[20:21], v2, v3
	v_add_co_u32_e64 v5, s[20:21], -1, v3
; %bb.564:                              ;   in Loop: Header=BB2_115 Depth=3
	s_or_b64 exec, exec, s[90:91]
	v_add_u32_e32 v3, 0xffffff81, v17
	v_cndmask_b32_e32 v3, v3, v48, vcc
	v_lshrrev_b32_e32 v6, 23, v2
	v_add3_u32 v17, v20, v3, v6
	v_add_u32_e32 v6, 14, v17
	v_and_b32_e32 v3, 0x1fffff, v5
	v_add_u32_e32 v58, v3, v2
	v_cmp_ne_u32_e32 vcc, 0, v6
                                        ; implicit-def: $vgpr2_vgpr3
                                        ; implicit-def: $vgpr5
	s_and_saveexec_b64 s[20:21], vcc
	s_xor_b64 s[20:21], exec, s[20:21]
; %bb.565:                              ;   in Loop: Header=BB2_115 Depth=3
	v_cmp_lt_u64_e32 vcc, s[62:63], v[58:59]
	v_add_u32_e32 v2, 15, v17
	v_cndmask_b32_e32 v5, v6, v2, vcc
	v_cndmask_b32_e64 v2, 0, 1, vcc
	v_lshrrev_b64 v[2:3], v2, v[58:59]
; %bb.566:                              ;   in Loop: Header=BB2_115 Depth=3
	s_andn2_saveexec_b64 s[20:21], s[20:21]
; %bb.567:                              ;   in Loop: Header=BB2_115 Depth=3
	v_mov_b32_e32 v2, v58
	v_bfe_u32 v5, v58, 23, 1
	v_mov_b32_e32 v3, v59
; %bb.568:                              ;   in Loop: Header=BB2_115 Depth=3
	s_or_b64 exec, exec, s[20:21]
	v_lshrrev_b64 v[2:3], 21, v[2:3]
	v_cmp_gt_i32_e32 vcc, 32, v5
	v_cndmask_b32_e32 v3, 0, v3, vcc
	v_cndmask_b32_e32 v2, 3, v2, vcc
	v_cmp_eq_u64_e64 s[20:21], 0, v[2:3]
	v_min_i32_e32 v3, 31, v5
	v_lshlrev_b32_e32 v3, 2, v3
	v_cmp_eq_u32_e32 vcc, 0, v5
	v_and_b32_e32 v3, 0xfc, v3
	v_and_or_b32 v2, v2, 3, v3
	s_and_b64 s[20:21], vcc, s[20:21]
	v_cndmask_b32_e64 v2, v2, 0, s[20:21]
	v_or_b32_e32 v3, v2, v0
.LBB2_569:                              ;   in Loop: Header=BB2_115 Depth=3
	s_or_b64 exec, exec, s[88:89]
                                        ; implicit-def: $vgpr0
.LBB2_570:                              ;   in Loop: Header=BB2_115 Depth=3
	s_andn2_saveexec_b64 s[20:21], s[78:79]
; %bb.571:                              ;   in Loop: Header=BB2_115 Depth=3
	v_or_b32_e32 v3, 0x7b, v0
; %bb.572:                              ;   in Loop: Header=BB2_115 Depth=3
	s_or_b64 exec, exec, s[20:21]
                                        ; implicit-def: $vgpr2
.LBB2_573:                              ;   in Loop: Header=BB2_115 Depth=3
	s_andn2_saveexec_b64 s[20:21], s[76:77]
	s_cbranch_execz .LBB2_114
; %bb.574:                              ;   in Loop: Header=BB2_115 Depth=3
	v_cmp_ne_u64_e32 vcc, 0, v[58:59]
                                        ; implicit-def: $vgpr3
	s_and_saveexec_b64 s[76:77], vcc
	s_xor_b64 s[76:77], exec, s[76:77]
; %bb.575:                              ;   in Loop: Header=BB2_115 Depth=3
	v_or_b32_sdwa v3, v2, s52 dst_sel:DWORD dst_unused:UNUSED_PAD src0_sel:BYTE_3 src1_sel:DWORD
                                        ; implicit-def: $vgpr2
; %bb.576:                              ;   in Loop: Header=BB2_115 Depth=3
	s_andn2_saveexec_b64 s[76:77], s[76:77]
	s_cbranch_execz .LBB2_113
; %bb.577:                              ;   in Loop: Header=BB2_115 Depth=3
	v_cmp_lt_i32_e32 vcc, -1, v2
	v_cndmask_b32_e32 v3, v49, v31, vcc
	s_branch .LBB2_113
.LBB2_578:                              ;   in Loop: Header=BB2_70 Depth=2
	s_or_b64 exec, exec, s[74:75]
	buffer_load_dword v44, off, s[0:3], s32 offset:116 ; 4-byte Folded Reload
	buffer_load_dword v45, off, s[0:3], s32 offset:120 ; 4-byte Folded Reload
	;; [unrolled: 1-line block ×4, first 2 shown]
	s_or_b64 exec, exec, s[72:73]
	s_and_saveexec_b64 s[20:21], s[10:11]
	s_cbranch_execz .LBB2_107
.LBB2_579:                              ;   in Loop: Header=BB2_70 Depth=2
	s_and_saveexec_b64 s[72:73], s[42:43]
	s_xor_b64 s[72:73], exec, s[72:73]
	s_cbranch_execz .LBB2_594
; %bb.580:                              ;   in Loop: Header=BB2_70 Depth=2
	s_and_saveexec_b64 s[74:75], s[12:13]
	s_cbranch_execz .LBB2_593
; %bb.581:                              ;   in Loop: Header=BB2_70 Depth=2
	s_mov_b64 s[78:79], exec
	s_waitcnt vmcnt(0) lgkmcnt(0)
	v_mbcnt_lo_u32_b32 v0, s78, 0
	v_mbcnt_hi_u32_b32 v0, s79, v0
	v_cmp_eq_u32_e32 vcc, 0, v0
	buffer_wbinvl1_vol
	s_and_saveexec_b64 s[76:77], vcc
	s_cbranch_execz .LBB2_583
; %bb.582:                              ;   in Loop: Header=BB2_70 Depth=2
	s_bcnt1_i32_b64 s28, s[78:79]
	v_mov_b32_e32 v58, s28
	ds_add_u64 v0, v[58:59]
	s_trap 2
.LBB2_583:                              ;   in Loop: Header=BB2_70 Depth=2
	s_or_b64 exec, exec, s[76:77]
	s_trap 2
	ds_read_b64 v[2:3], v0
	s_waitcnt lgkmcnt(0)
	buffer_load_dword v0, off, s[0:3], s32 offset:128 ; 4-byte Folded Reload
	s_waitcnt vmcnt(0)
	v_add_co_u32_e32 v40, vcc, v40, v0
	v_addc_co_u32_e32 v41, vcc, 0, v41, vcc
	v_cmp_lt_u64_e32 vcc, v[2:3], v[40:41]
	s_and_saveexec_b64 s[76:77], vcc
	s_cbranch_execz .LBB2_592
; %bb.584:                              ;   in Loop: Header=BB2_70 Depth=2
	s_mov_b32 s28, 0
	s_mov_b64 s[78:79], 0
                                        ; implicit-def: $sgpr88_sgpr89
                                        ; implicit-def: $sgpr90_sgpr91
	s_branch .LBB2_586
.LBB2_585:                              ;   in Loop: Header=BB2_586 Depth=3
	s_or_b64 exec, exec, s[94:95]
	s_and_b64 s[92:93], exec, vcc
	s_or_b64 s[78:79], s[92:93], s[78:79]
	s_andn2_b64 s[88:89], s[88:89], exec
	s_and_b64 s[92:93], s[90:91], exec
	s_or_b64 s[88:89], s[88:89], s[92:93]
	s_andn2_b64 exec, exec, s[78:79]
	s_cbranch_execz .LBB2_590
.LBB2_586:                              ;   Parent Loop BB2_21 Depth=1
                                        ;     Parent Loop BB2_70 Depth=2
                                        ; =>    This Inner Loop Header: Depth=3
	s_add_i32 s28, s28, 1
	s_cmpk_lg_i32 s28, 0x2710
	s_cselect_b64 s[92:93], -1, 0
	s_and_b64 vcc, exec, s[92:93]
	s_cbranch_vccz .LBB2_588
; %bb.587:                              ;   in Loop: Header=BB2_586 Depth=3
	s_mov_b64 vcc, -1
	s_or_b64 s[90:91], s[90:91], exec
	s_and_saveexec_b64 s[94:95], s[92:93]
	s_cbranch_execz .LBB2_585
	s_branch .LBB2_589
.LBB2_588:                              ;   in Loop: Header=BB2_586 Depth=3
	s_trap 2
	ds_read_b64 v[2:3], v0
	s_andn2_b64 s[92:93], s[92:93], exec
	s_mov_b32 s28, 0
	s_waitcnt lgkmcnt(0)
	flat_load_dword v0, v[2:3] glc
	s_waitcnt vmcnt(0) lgkmcnt(0)
	buffer_wbinvl1_vol
	v_cmp_eq_u32_e32 vcc, 0, v0
	s_and_b64 s[94:95], vcc, exec
	s_or_b64 s[92:93], s[92:93], s[94:95]
	s_mov_b64 vcc, -1
	s_or_b64 s[90:91], s[90:91], exec
	s_and_saveexec_b64 s[94:95], s[92:93]
	s_cbranch_execz .LBB2_585
.LBB2_589:                              ;   in Loop: Header=BB2_586 Depth=3
	s_sleep 1
	s_trap 2
	ds_read_b64 v[2:3], v0
	s_waitcnt lgkmcnt(0)
	s_andn2_b64 s[90:91], s[90:91], exec
	v_cmp_ge_u64_e32 vcc, v[2:3], v[40:41]
	s_orn2_b64 vcc, vcc, exec
	s_branch .LBB2_585
.LBB2_590:                              ;   in Loop: Header=BB2_70 Depth=2
	s_or_b64 exec, exec, s[78:79]
	s_and_saveexec_b64 s[78:79], s[88:89]
	s_xor_b64 s[78:79], exec, s[78:79]
	s_cbranch_execz .LBB2_592
; %bb.591:                              ;   in Loop: Header=BB2_70 Depth=2
	v_mov_b32_e32 v0, 1
	ds_write_b32 v0, v0
	s_trap 2
.LBB2_592:                              ;   in Loop: Header=BB2_70 Depth=2
	s_or_b64 exec, exec, s[76:77]
	;;#ASMSTART
	s_wakeup
	;;#ASMEND
.LBB2_593:                              ;   in Loop: Header=BB2_70 Depth=2
	s_or_b64 exec, exec, s[74:75]
.LBB2_594:                              ;   in Loop: Header=BB2_70 Depth=2
	s_andn2_saveexec_b64 s[72:73], s[72:73]
	s_cbranch_execz .LBB2_596
; %bb.595:                              ;   in Loop: Header=BB2_70 Depth=2
	s_waitcnt vmcnt(0) lgkmcnt(0)
	buffer_wbinvl1_vol
	s_barrier
.LBB2_596:                              ;   in Loop: Header=BB2_70 Depth=2
	s_or_b64 exec, exec, s[72:73]
	s_or_b64 exec, exec, s[20:21]
	s_and_saveexec_b64 s[20:21], s[16:17]
	s_cbranch_execnz .LBB2_108
	s_branch .LBB2_109
.LBB2_597:                              ;   in Loop: Header=BB2_21 Depth=1
	buffer_load_dword v10, off, s[0:3], s32 offset:148 ; 4-byte Folded Reload
	v_mov_b32_e32 v21, v46
	v_mov_b32_e32 v22, v47
	s_and_saveexec_b64 s[20:21], s[18:19]
	s_cbranch_execnz .LBB2_599
	s_branch .LBB2_1084
.LBB2_598:                              ;   in Loop: Header=BB2_21 Depth=1
	buffer_load_dword v7, off, s[0:3], s32 offset:200 ; 4-byte Folded Reload
	buffer_load_dword v10, off, s[0:3], s32 offset:148 ; 4-byte Folded Reload
	v_mov_b32_e32 v21, v46
	v_mov_b32_e32 v22, v47
	s_and_saveexec_b64 s[20:21], s[18:19]
	s_cbranch_execz .LBB2_1084
.LBB2_599:                              ;   in Loop: Header=BB2_21 Depth=1
	s_waitcnt lgkmcnt(0)
	flat_load_dword v0, v[44:45]
	buffer_load_dword v17, off, s[0:3], s32 offset:204 ; 4-byte Folded Reload
	buffer_load_dword v18, off, s[0:3], s32 offset:208 ; 4-byte Folded Reload
	;; [unrolled: 1-line block ×6, first 2 shown]
	v_add_u32_e32 v30, 1, v34
	s_mov_b64 s[72:73], 0
	s_waitcnt vmcnt(0) lgkmcnt(0)
	v_ashrrev_i32_e32 v4, 31, v0
	v_mov_b32_e32 v2, v19
	v_mov_b32_e32 v3, v20
	v_add_co_u32_e32 v2, vcc, v2, v7
	v_addc_co_u32_e32 v3, vcc, v3, v10, vcc
	v_mul_lo_u32 v5, v5, v0
	v_mul_lo_u32 v4, v6, v4
	v_mad_u64_u32 v[2:3], s[18:19], v6, v0, v[2:3]
	v_add3_u32 v0, v5, v3, v4
	buffer_load_dword v3, off, s[0:3], s32 offset:152 ; 4-byte Folded Reload
	s_waitcnt vmcnt(0)
	v_add_co_u32_e32 v5, vcc, v2, v3
	v_addc_co_u32_e32 v6, vcc, 0, v0, vcc
	buffer_load_dword v0, off, s[0:3], s32 offset:228 ; 4-byte Folded Reload
	s_waitcnt vmcnt(0)
	v_add_co_u32_e32 v46, vcc, v0, v7
	buffer_load_dword v0, off, s[0:3], s32 offset:232 ; 4-byte Folded Reload
	buffer_load_dword v17, off, s[0:3], s32 offset:100 ; 4-byte Folded Reload
	;; [unrolled: 1-line block ×5, first 2 shown]
	s_waitcnt vmcnt(4)
	v_addc_co_u32_e32 v47, vcc, v0, v10, vcc
	v_and_b32_e32 v0, 7, v34
	v_mul_lo_u32 v2, v0, s38
	v_ashrrev_i32_e32 v3, 31, v2
	v_lshlrev_b64 v[2:3], 4, v[2:3]
	s_waitcnt vmcnt(3)
	v_add_co_u32_e32 v7, vcc, v17, v2
	s_waitcnt vmcnt(2)
	v_addc_co_u32_e32 v29, vcc, v18, v3, vcc
	s_branch .LBB2_601
.LBB2_600:                              ;   in Loop: Header=BB2_601 Depth=2
	v_add_co_u32_e32 v5, vcc, v5, v26
	v_addc_co_u32_e32 v6, vcc, 0, v6, vcc
	v_add_co_u32_e32 v46, vcc, v46, v26
	v_addc_co_u32_e32 v47, vcc, 0, v47, vcc
	v_sub_u32_e32 v42, v42, v26
	v_cmp_gt_i32_e32 vcc, 1, v42
	s_or_b64 s[72:73], vcc, s[72:73]
	v_add_u32_e32 v56, v56, v1
	s_andn2_b64 exec, exec, s[72:73]
	s_cbranch_execz .LBB2_1083
.LBB2_601:                              ;   Parent Loop BB2_21 Depth=1
                                        ; =>  This Loop Header: Depth=2
                                        ;       Child Loop BB2_609 Depth 3
	v_and_b32_e32 v2, -4, v5
	v_mov_b32_e32 v3, v6
	global_load_dword v0, v[2:3], off glc slc
	v_min_u32_e32 v4, 8, v42
	v_and_b32_e32 v10, 3, v5
	v_add_u32_e32 v58, v10, v4
	v_cmp_lt_u32_e32 vcc, 4, v58
	v_mov_b32_e32 v24, 0
	v_mov_b32_e32 v33, 0
	s_and_saveexec_b64 s[18:19], vcc
	s_cbranch_execz .LBB2_603
; %bb.602:                              ;   in Loop: Header=BB2_601 Depth=2
	global_load_dword v33, v[2:3], off offset:4 glc slc
.LBB2_603:                              ;   in Loop: Header=BB2_601 Depth=2
	s_or_b64 exec, exec, s[18:19]
	v_cmp_lt_u64_e32 vcc, 8, v[58:59]
	s_and_saveexec_b64 s[18:19], vcc
	s_cbranch_execz .LBB2_605
; %bb.604:                              ;   in Loop: Header=BB2_601 Depth=2
	global_load_dword v24, v[2:3], off offset:8 glc slc
.LBB2_605:                              ;   in Loop: Header=BB2_601 Depth=2
	s_or_b64 exec, exec, s[18:19]
	s_waitcnt vmcnt(0)
	v_mov_b32_e32 v57, v59
	v_lshlrev_b64 v[2:3], 4, v[56:57]
	v_add_co_u32_e32 v27, vcc, v7, v2
	v_addc_co_u32_e32 v28, vcc, v29, v3, vcc
	global_load_dwordx4 v[17:20], v[27:28], off glc slc
	v_cmp_eq_u32_e32 vcc, 0, v9
	v_mov_b32_e32 v9, 1
	s_and_saveexec_b64 s[74:75], vcc
	s_cbranch_execz .LBB2_617
; %bb.606:                              ;   in Loop: Header=BB2_601 Depth=2
	s_waitcnt vmcnt(0)
	v_cmp_ne_u32_e32 vcc, v30, v18
	v_cmp_ne_u32_e64 s[18:19], v30, v20
	s_or_b64 s[18:19], vcc, s[18:19]
	v_mov_b32_e32 v9, 0
	s_and_saveexec_b64 s[76:77], s[18:19]
	s_cbranch_execz .LBB2_616
; %bb.607:                              ;   in Loop: Header=BB2_601 Depth=2
	s_mov_b32 s28, 1
	s_mov_b64 s[88:89], 0
                                        ; implicit-def: $sgpr78_sgpr79
                                        ; implicit-def: $sgpr90_sgpr91
	s_branch .LBB2_609
.LBB2_608:                              ;   in Loop: Header=BB2_609 Depth=3
	s_or_b64 exec, exec, s[94:95]
	s_and_b64 s[18:19], exec, s[18:19]
	s_or_b64 s[88:89], s[18:19], s[88:89]
	s_andn2_b64 s[18:19], s[78:79], exec
	s_and_b64 s[78:79], s[90:91], exec
	s_or_b64 s[78:79], s[18:19], s[78:79]
	s_andn2_b64 exec, exec, s[88:89]
	s_cbranch_execz .LBB2_613
.LBB2_609:                              ;   Parent Loop BB2_21 Depth=1
                                        ;     Parent Loop BB2_601 Depth=2
                                        ; =>    This Inner Loop Header: Depth=3
	global_load_dwordx4 v[17:20], v[27:28], off glc slc
	s_add_i32 s28, s28, 1
	s_mov_b64 s[18:19], -1
	s_cmpk_lg_i32 s28, 0x2710
	s_mov_b64 s[92:93], -1
                                        ; implicit-def: $vgpr2
	s_cbranch_scc0 .LBB2_611
; %bb.610:                              ;   in Loop: Header=BB2_609 Depth=3
	s_or_b64 s[90:91], s[90:91], exec
	s_and_saveexec_b64 s[94:95], s[92:93]
	s_cbranch_execz .LBB2_608
	s_branch .LBB2_612
.LBB2_611:                              ;   in Loop: Header=BB2_609 Depth=3
	s_trap 2
	ds_read_b64 v[2:3], v0
	s_mov_b32 s28, 0
	s_waitcnt vmcnt(0) lgkmcnt(0)
	flat_load_dword v2, v[2:3] glc
	s_waitcnt vmcnt(0) lgkmcnt(0)
	buffer_wbinvl1_vol
	v_cmp_eq_u32_e32 vcc, 0, v2
	s_orn2_b64 s[92:93], vcc, exec
	s_or_b64 s[90:91], s[90:91], exec
	s_and_saveexec_b64 s[94:95], s[92:93]
	s_cbranch_execz .LBB2_608
.LBB2_612:                              ;   in Loop: Header=BB2_609 Depth=3
	s_waitcnt vmcnt(0)
	v_cmp_eq_u32_e32 vcc, v30, v18
	v_cmp_eq_u32_e64 s[18:19], v30, v20
	s_and_b64 s[18:19], vcc, s[18:19]
	s_andn2_b64 s[90:91], s[90:91], exec
	s_orn2_b64 s[18:19], s[18:19], exec
	s_branch .LBB2_608
.LBB2_613:                              ;   in Loop: Header=BB2_601 Depth=2
	s_or_b64 exec, exec, s[88:89]
	v_mov_b32_e32 v9, 0
	s_and_saveexec_b64 s[18:19], s[78:79]
	s_xor_b64 s[18:19], exec, s[18:19]
	s_cbranch_execz .LBB2_615
; %bb.614:                              ;   in Loop: Header=BB2_601 Depth=2
	v_mov_b32_e32 v9, 1
	ds_write_b32 v0, v2
	s_trap 2
.LBB2_615:                              ;   in Loop: Header=BB2_601 Depth=2
	s_or_b64 exec, exec, s[18:19]
.LBB2_616:                              ;   in Loop: Header=BB2_601 Depth=2
	s_or_b64 exec, exec, s[76:77]
.LBB2_617:                              ;   in Loop: Header=BB2_601 Depth=2
	s_or_b64 exec, exec, s[74:75]
	v_lshlrev_b32_e32 v37, 3, v5
	s_waitcnt vmcnt(0)
	v_alignbit_b32 v58, v33, v0, v37
	s_waitcnt vmcnt(0)
	v_cmp_ne_u16_sdwa s[18:19], v17, v59 src0_sel:BYTE_0 src1_sel:DWORD
                                        ; implicit-def: $vgpr4
	s_and_saveexec_b64 s[74:75], s[14:15]
	s_xor_b64 s[74:75], exec, s[74:75]
	s_cbranch_execz .LBB2_635
; %bb.618:                              ;   in Loop: Header=BB2_601 Depth=2
	v_mov_b32_e32 v2, 0
	v_mov_b32_e32 v0, 0
	s_and_saveexec_b64 s[76:77], s[18:19]
	s_cbranch_execz .LBB2_626
; %bb.619:                              ;   in Loop: Header=BB2_601 Depth=2
	v_cmp_ne_u16_sdwa s[88:89], sext(v17), s48 src0_sel:BYTE_0 src1_sel:DWORD
	v_bfrev_b32_e32 v0, 1
	s_and_saveexec_b64 s[78:79], s[88:89]
	s_cbranch_execz .LBB2_625
; %bb.620:                              ;   in Loop: Header=BB2_601 Depth=2
	v_and_b32_e32 v0, 0x7c, v17
	v_and_b32_e32 v3, 3, v17
	v_cmp_ne_u32_e32 vcc, s49, v0
                                        ; implicit-def: $vgpr0
	s_and_saveexec_b64 s[88:89], vcc
	s_xor_b64 s[88:89], exec, s[88:89]
	s_cbranch_execz .LBB2_622
; %bb.621:                              ;   in Loop: Header=BB2_601 Depth=2
	v_ffbh_u32_e32 v4, v3
	v_min_u32_e32 v4, 32, v4
	v_bfe_u32 v0, v17, 2, 5
	v_subrev_u32_e32 v10, 29, v4
	v_lshlrev_b64 v[27:28], v10, v[17:18]
	v_sub_u32_e32 v4, 30, v4
	v_cmp_eq_u32_e32 vcc, 0, v0
	v_cndmask_b32_e32 v0, v0, v4, vcc
	v_lshlrev_b32_e32 v4, 24, v17
	v_and_b32_e32 v10, 3, v27
	v_and_b32_e32 v4, 0x80000000, v4
	v_cndmask_b32_e32 v3, v3, v10, vcc
	v_lshl_add_u32 v0, v0, 23, v4
	v_lshl_or_b32 v0, v3, 21, v0
	v_add_u32_e32 v0, 0x38000000, v0
                                        ; implicit-def: $vgpr3
.LBB2_622:                              ;   in Loop: Header=BB2_601 Depth=2
	s_andn2_saveexec_b64 s[88:89], s[88:89]
; %bb.623:                              ;   in Loop: Header=BB2_601 Depth=2
	v_cmp_gt_i16_sdwa vcc, sext(v17), v43 src0_sel:BYTE_0 src1_sel:DWORD
	v_cndmask_b32_e32 v0, v8, v54, vcc
	v_cmp_eq_u32_e32 vcc, 0, v3
	v_cndmask_b32_e32 v0, v55, v0, vcc
; %bb.624:                              ;   in Loop: Header=BB2_601 Depth=2
	s_or_b64 exec, exec, s[88:89]
.LBB2_625:                              ;   in Loop: Header=BB2_601 Depth=2
	s_or_b64 exec, exec, s[78:79]
.LBB2_626:                              ;   in Loop: Header=BB2_601 Depth=2
	s_or_b64 exec, exec, s[76:77]
	v_cmp_ne_u16_sdwa s[78:79], sext(v58), v59 src0_sel:BYTE_0 src1_sel:DWORD
	s_and_saveexec_b64 s[76:77], s[78:79]
	s_cbranch_execz .LBB2_634
; %bb.627:                              ;   in Loop: Header=BB2_601 Depth=2
	v_cmp_ne_u16_sdwa s[88:89], sext(v58), s48 src0_sel:BYTE_0 src1_sel:DWORD
	v_bfrev_b32_e32 v2, 1
	s_and_saveexec_b64 s[78:79], s[88:89]
	s_cbranch_execz .LBB2_633
; %bb.628:                              ;   in Loop: Header=BB2_601 Depth=2
	v_and_b32_e32 v2, 0x7c, v58
	v_and_b32_e32 v3, 3, v58
	v_cmp_ne_u32_e32 vcc, s49, v2
                                        ; implicit-def: $vgpr2
	s_and_saveexec_b64 s[88:89], vcc
	s_xor_b64 s[88:89], exec, s[88:89]
	s_cbranch_execz .LBB2_630
; %bb.629:                              ;   in Loop: Header=BB2_601 Depth=2
	v_ffbh_u32_e32 v4, v3
	v_min_u32_e32 v4, 32, v4
	v_bfe_u32 v2, v58, 2, 5
	v_subrev_u32_e32 v10, 29, v4
	v_lshlrev_b64 v[27:28], v10, v[58:59]
	v_sub_u32_e32 v4, 30, v4
	v_cmp_eq_u32_e32 vcc, 0, v2
	v_cndmask_b32_e32 v2, v2, v4, vcc
	v_lshlrev_b32_e32 v4, 24, v58
	v_and_b32_e32 v10, 3, v27
	v_and_b32_e32 v4, 0x80000000, v4
	v_cndmask_b32_e32 v3, v3, v10, vcc
	v_lshl_add_u32 v2, v2, 23, v4
	v_lshl_or_b32 v2, v3, 21, v2
	v_add_u32_e32 v2, 0x38000000, v2
                                        ; implicit-def: $vgpr3
.LBB2_630:                              ;   in Loop: Header=BB2_601 Depth=2
	s_andn2_saveexec_b64 s[88:89], s[88:89]
; %bb.631:                              ;   in Loop: Header=BB2_601 Depth=2
	v_cmp_gt_i16_sdwa vcc, sext(v58), v43 src0_sel:BYTE_0 src1_sel:DWORD
	v_cndmask_b32_e32 v2, v8, v54, vcc
	v_cmp_eq_u32_e32 vcc, 0, v3
	v_cndmask_b32_e32 v2, v55, v2, vcc
; %bb.632:                              ;   in Loop: Header=BB2_601 Depth=2
	s_or_b64 exec, exec, s[88:89]
.LBB2_633:                              ;   in Loop: Header=BB2_601 Depth=2
	s_or_b64 exec, exec, s[78:79]
.LBB2_634:                              ;   in Loop: Header=BB2_601 Depth=2
	s_or_b64 exec, exec, s[76:77]
	v_max_f32_e32 v2, v2, v2
	v_max_f32_e32 v0, v0, v0
	;; [unrolled: 1-line block ×3, first 2 shown]
.LBB2_635:                              ;   in Loop: Header=BB2_601 Depth=2
	s_andn2_saveexec_b64 s[74:75], s[74:75]
	s_cbranch_execz .LBB2_653
; %bb.636:                              ;   in Loop: Header=BB2_601 Depth=2
	v_mov_b32_e32 v2, 0
	v_mov_b32_e32 v0, 0
	s_and_saveexec_b64 s[76:77], s[18:19]
	s_cbranch_execz .LBB2_644
; %bb.637:                              ;   in Loop: Header=BB2_601 Depth=2
	v_cmp_ne_u16_sdwa s[78:79], sext(v17), s48 src0_sel:BYTE_0 src1_sel:DWORD
	v_bfrev_b32_e32 v0, 1
	s_and_saveexec_b64 s[18:19], s[78:79]
	s_cbranch_execz .LBB2_643
; %bb.638:                              ;   in Loop: Header=BB2_601 Depth=2
	v_and_b32_e32 v0, 0x7c, v17
	v_and_b32_e32 v3, 3, v17
	v_cmp_ne_u32_e32 vcc, s49, v0
                                        ; implicit-def: $vgpr0
	s_and_saveexec_b64 s[78:79], vcc
	s_xor_b64 s[78:79], exec, s[78:79]
	s_cbranch_execz .LBB2_640
; %bb.639:                              ;   in Loop: Header=BB2_601 Depth=2
	v_ffbh_u32_e32 v4, v3
	v_min_u32_e32 v4, 32, v4
	v_bfe_u32 v0, v17, 2, 5
	v_subrev_u32_e32 v10, 29, v4
	v_lshlrev_b64 v[27:28], v10, v[17:18]
	v_sub_u32_e32 v4, 30, v4
	v_cmp_eq_u32_e32 vcc, 0, v0
	v_cndmask_b32_e32 v0, v0, v4, vcc
	v_lshlrev_b32_e32 v4, 24, v17
	v_and_b32_e32 v10, 3, v27
	v_and_b32_e32 v4, 0x80000000, v4
	v_cndmask_b32_e32 v3, v3, v10, vcc
	v_lshl_add_u32 v0, v0, 23, v4
	v_lshl_or_b32 v0, v3, 21, v0
	v_add_u32_e32 v0, 0x38000000, v0
                                        ; implicit-def: $vgpr3
.LBB2_640:                              ;   in Loop: Header=BB2_601 Depth=2
	s_andn2_saveexec_b64 s[78:79], s[78:79]
; %bb.641:                              ;   in Loop: Header=BB2_601 Depth=2
	v_cmp_gt_i16_sdwa vcc, sext(v17), v43 src0_sel:BYTE_0 src1_sel:DWORD
	v_cndmask_b32_e32 v0, v8, v54, vcc
	v_cmp_eq_u32_e32 vcc, 0, v3
	v_cndmask_b32_e32 v0, v55, v0, vcc
; %bb.642:                              ;   in Loop: Header=BB2_601 Depth=2
	s_or_b64 exec, exec, s[78:79]
.LBB2_643:                              ;   in Loop: Header=BB2_601 Depth=2
	s_or_b64 exec, exec, s[18:19]
.LBB2_644:                              ;   in Loop: Header=BB2_601 Depth=2
	s_or_b64 exec, exec, s[76:77]
	v_cmp_ne_u16_sdwa s[76:77], sext(v58), v59 src0_sel:BYTE_0 src1_sel:DWORD
	s_and_saveexec_b64 s[18:19], s[76:77]
	s_cbranch_execz .LBB2_652
; %bb.645:                              ;   in Loop: Header=BB2_601 Depth=2
	v_cmp_ne_u16_sdwa s[78:79], sext(v58), s48 src0_sel:BYTE_0 src1_sel:DWORD
	v_bfrev_b32_e32 v2, 1
	s_and_saveexec_b64 s[76:77], s[78:79]
	s_cbranch_execz .LBB2_651
; %bb.646:                              ;   in Loop: Header=BB2_601 Depth=2
	v_and_b32_e32 v2, 0x7c, v58
	v_and_b32_e32 v3, 3, v58
	v_cmp_ne_u32_e32 vcc, s49, v2
                                        ; implicit-def: $vgpr2
	s_and_saveexec_b64 s[78:79], vcc
	s_xor_b64 s[78:79], exec, s[78:79]
	s_cbranch_execz .LBB2_648
; %bb.647:                              ;   in Loop: Header=BB2_601 Depth=2
	v_ffbh_u32_e32 v4, v3
	v_min_u32_e32 v4, 32, v4
	v_bfe_u32 v2, v58, 2, 5
	v_subrev_u32_e32 v10, 29, v4
	v_lshlrev_b64 v[27:28], v10, v[58:59]
	v_sub_u32_e32 v4, 30, v4
	v_cmp_eq_u32_e32 vcc, 0, v2
	v_cndmask_b32_e32 v2, v2, v4, vcc
	v_lshlrev_b32_e32 v4, 24, v58
	v_and_b32_e32 v10, 3, v27
	v_and_b32_e32 v4, 0x80000000, v4
	v_cndmask_b32_e32 v3, v3, v10, vcc
	v_lshl_add_u32 v2, v2, 23, v4
	v_lshl_or_b32 v2, v3, 21, v2
	v_add_u32_e32 v2, 0x38000000, v2
                                        ; implicit-def: $vgpr3
.LBB2_648:                              ;   in Loop: Header=BB2_601 Depth=2
	s_andn2_saveexec_b64 s[78:79], s[78:79]
; %bb.649:                              ;   in Loop: Header=BB2_601 Depth=2
	v_cmp_gt_i16_sdwa vcc, sext(v58), v43 src0_sel:BYTE_0 src1_sel:DWORD
	v_cndmask_b32_e32 v2, v8, v54, vcc
	v_cmp_eq_u32_e32 vcc, 0, v3
	v_cndmask_b32_e32 v2, v55, v2, vcc
; %bb.650:                              ;   in Loop: Header=BB2_601 Depth=2
	s_or_b64 exec, exec, s[78:79]
.LBB2_651:                              ;   in Loop: Header=BB2_601 Depth=2
	s_or_b64 exec, exec, s[76:77]
.LBB2_652:                              ;   in Loop: Header=BB2_601 Depth=2
	s_or_b64 exec, exec, s[18:19]
	v_max_f32_e32 v2, v2, v2
	v_max_f32_e32 v0, v0, v0
	v_min_f32_e32 v4, v0, v2
.LBB2_653:                              ;   in Loop: Header=BB2_601 Depth=2
	s_or_b64 exec, exec, s[74:75]
	v_and_b32_e32 v27, 0x7f800000, v4
	v_mov_b32_e32 v28, v59
	v_cmp_ne_u64_e32 vcc, s[58:59], v[27:28]
	v_and_b32_e32 v2, 0x7fffff, v4
	v_mov_b32_e32 v3, v59
                                        ; implicit-def: $vgpr10
	s_and_saveexec_b64 s[18:19], vcc
	s_xor_b64 s[74:75], exec, s[18:19]
	s_cbranch_execz .LBB2_667
; %bb.654:                              ;   in Loop: Header=BB2_601 Depth=2
	v_and_b32_e32 v27, 0x7fffffff, v4
	v_mov_b32_e32 v28, v59
	v_cmp_gt_u64_e32 vcc, s[60:61], v[27:28]
	v_and_b32_sdwa v0, v4, s50 dst_sel:DWORD dst_unused:UNUSED_PAD src0_sel:BYTE_3 src1_sel:DWORD
                                        ; implicit-def: $vgpr10
	s_and_saveexec_b64 s[18:19], vcc
	s_xor_b64 s[76:77], exec, s[18:19]
	s_cbranch_execz .LBB2_664
; %bb.655:                              ;   in Loop: Header=BB2_601 Depth=2
	v_mov_b32_e32 v10, 0
	v_cmp_ne_u32_e32 vcc, 0, v4
	s_and_saveexec_b64 s[78:79], vcc
	s_cbranch_execz .LBB2_663
; %bb.656:                              ;   in Loop: Header=BB2_601 Depth=2
	v_bfe_u32 v10, v4, 23, 8
	v_cmp_gt_u32_e64 s[18:19], s51, v10
	v_sub_u32_e32 v4, 0x71, v10
	v_cmp_eq_u32_e32 vcc, 0, v10
	v_cndmask_b32_e64 v4, 0, v4, s[18:19]
	v_cndmask_b32_e32 v18, v4, v25, vcc
	v_add_u32_e32 v4, 21, v18
	v_or_b32_e32 v23, 0x800000, v2
	v_lshlrev_b64 v[27:28], v4, -1
	v_cndmask_b32_e32 v2, v23, v2, vcc
	v_add_u32_e32 v4, 20, v18
	v_bfi_b32 v27, v27, 0, v2
	v_lshlrev_b64 v[38:39], v4, 1
	v_lshrrev_b64 v[2:3], v18, v[2:3]
	v_bfi_b32 v28, v28, 0, 0
	v_cmp_eq_u64_e64 s[18:19], v[27:28], v[38:39]
	v_mov_b32_e32 v4, v3
	v_mov_b32_e32 v3, v2
	s_and_saveexec_b64 s[88:89], s[18:19]
; %bb.657:                              ;   in Loop: Header=BB2_601 Depth=2
	v_bfe_u32 v3, v2, 21, 1
	v_add_co_u32_e64 v3, s[18:19], v2, v3
	v_add_co_u32_e64 v3, s[18:19], -1, v3
; %bb.658:                              ;   in Loop: Header=BB2_601 Depth=2
	s_or_b64 exec, exec, s[88:89]
	v_add_u32_e32 v4, 0xffffff81, v10
	v_cndmask_b32_e32 v4, v4, v48, vcc
	v_lshrrev_b32_e32 v10, 23, v2
	v_add3_u32 v18, v18, v4, v10
	v_add_u32_e32 v10, 14, v18
	v_and_b32_e32 v3, 0x1fffff, v3
	v_add_u32_e32 v2, v3, v2
	v_mov_b32_e32 v3, v59
	v_cmp_ne_u32_e32 vcc, 0, v10
                                        ; implicit-def: $vgpr4
	s_and_saveexec_b64 s[18:19], vcc
	s_xor_b64 s[18:19], exec, s[18:19]
; %bb.659:                              ;   in Loop: Header=BB2_601 Depth=2
	v_cmp_lt_u64_e32 vcc, s[62:63], v[2:3]
	v_add_u32_e32 v4, 15, v18
	v_cndmask_b32_e32 v4, v10, v4, vcc
	v_cndmask_b32_e64 v10, 0, 1, vcc
	v_lshrrev_b64 v[2:3], v10, v[2:3]
; %bb.660:                              ;   in Loop: Header=BB2_601 Depth=2
	s_andn2_saveexec_b64 s[18:19], s[18:19]
; %bb.661:                              ;   in Loop: Header=BB2_601 Depth=2
	v_bfe_u32 v4, v2, 23, 1
; %bb.662:                              ;   in Loop: Header=BB2_601 Depth=2
	s_or_b64 exec, exec, s[18:19]
	v_lshrrev_b64 v[2:3], 21, v[2:3]
	v_cmp_gt_i32_e32 vcc, 32, v4
	v_cndmask_b32_e32 v3, 0, v3, vcc
	v_cndmask_b32_e32 v2, 3, v2, vcc
	v_cmp_eq_u64_e64 s[18:19], 0, v[2:3]
	v_min_i32_e32 v3, 31, v4
	v_lshlrev_b32_e32 v3, 2, v3
	v_cmp_eq_u32_e32 vcc, 0, v4
	v_and_b32_e32 v3, 0xfc, v3
	v_and_or_b32 v2, v2, 3, v3
	s_and_b64 s[18:19], vcc, s[18:19]
	v_cndmask_b32_e64 v2, v2, 0, s[18:19]
	v_or_b32_e32 v10, v2, v0
.LBB2_663:                              ;   in Loop: Header=BB2_601 Depth=2
	s_or_b64 exec, exec, s[78:79]
                                        ; implicit-def: $vgpr0
.LBB2_664:                              ;   in Loop: Header=BB2_601 Depth=2
	s_andn2_saveexec_b64 s[18:19], s[76:77]
; %bb.665:                              ;   in Loop: Header=BB2_601 Depth=2
	v_or_b32_e32 v10, 0x7b, v0
; %bb.666:                              ;   in Loop: Header=BB2_601 Depth=2
	s_or_b64 exec, exec, s[18:19]
                                        ; implicit-def: $vgpr4
                                        ; implicit-def: $vgpr2_vgpr3
.LBB2_667:                              ;   in Loop: Header=BB2_601 Depth=2
	s_andn2_saveexec_b64 s[18:19], s[74:75]
	s_cbranch_execz .LBB2_673
; %bb.668:                              ;   in Loop: Header=BB2_601 Depth=2
	v_cmp_ne_u64_e32 vcc, 0, v[2:3]
                                        ; implicit-def: $vgpr10
	s_and_saveexec_b64 s[74:75], vcc
	s_xor_b64 s[74:75], exec, s[74:75]
; %bb.669:                              ;   in Loop: Header=BB2_601 Depth=2
	v_or_b32_sdwa v10, v4, s52 dst_sel:DWORD dst_unused:UNUSED_PAD src0_sel:BYTE_3 src1_sel:DWORD
                                        ; implicit-def: $vgpr4
; %bb.670:                              ;   in Loop: Header=BB2_601 Depth=2
	s_andn2_saveexec_b64 s[74:75], s[74:75]
; %bb.671:                              ;   in Loop: Header=BB2_601 Depth=2
	v_cmp_lt_i32_e32 vcc, -1, v4
	v_cndmask_b32_e32 v10, v49, v31, vcc
; %bb.672:                              ;   in Loop: Header=BB2_601 Depth=2
	s_or_b64 exec, exec, s[74:75]
.LBB2_673:                              ;   in Loop: Header=BB2_601 Depth=2
	s_or_b64 exec, exec, s[18:19]
	v_lshrrev_b16_e32 v2, 8, v17
	v_lshrrev_b16_e32 v27, 8, v58
	v_cmp_ne_u16_e32 vcc, 0, v2
                                        ; implicit-def: $vgpr4
	s_and_saveexec_b64 s[18:19], s[14:15]
	s_xor_b64 s[74:75], exec, s[18:19]
	s_cbranch_execz .LBB2_691
; %bb.674:                              ;   in Loop: Header=BB2_601 Depth=2
	v_mov_b32_e32 v4, 0
	v_mov_b32_e32 v0, 0
	s_and_saveexec_b64 s[76:77], vcc
	s_cbranch_execz .LBB2_682
; %bb.675:                              ;   in Loop: Header=BB2_601 Depth=2
	v_cmp_ne_u16_e64 s[18:19], s50, v2
	v_bfrev_b32_e32 v0, 1
	s_and_saveexec_b64 s[78:79], s[18:19]
	s_cbranch_execz .LBB2_681
; %bb.676:                              ;   in Loop: Header=BB2_601 Depth=2
	v_and_b32_e32 v0, 0x7c, v2
	v_and_b32_e32 v18, 3, v2
	v_cmp_ne_u32_e64 s[18:19], s49, v0
                                        ; implicit-def: $vgpr0
	s_and_saveexec_b64 s[88:89], s[18:19]
	s_xor_b64 s[88:89], exec, s[88:89]
	s_cbranch_execz .LBB2_678
; %bb.677:                              ;   in Loop: Header=BB2_601 Depth=2
	v_ffbh_u32_e32 v23, v18
	v_min_u32_e32 v23, 32, v23
	v_mov_b32_e32 v3, v59
	v_subrev_u32_e32 v28, 29, v23
	v_bfe_u32 v0, v2, 2, 5
	v_lshlrev_b64 v[2:3], v28, v[2:3]
	v_sub_u32_e32 v3, 30, v23
	v_cmp_eq_u32_e64 s[18:19], 0, v0
	v_cndmask_b32_e64 v0, v0, v3, s[18:19]
	v_lshlrev_b32_e32 v3, 16, v17
	v_and_b32_e32 v2, 3, v2
	v_and_b32_e32 v3, 0x80000000, v3
	v_cndmask_b32_e64 v2, v18, v2, s[18:19]
	v_lshl_add_u32 v0, v0, 23, v3
	v_lshl_or_b32 v0, v2, 21, v0
	v_add_u32_e32 v0, 0x38000000, v0
                                        ; implicit-def: $vgpr18
.LBB2_678:                              ;   in Loop: Header=BB2_601 Depth=2
	s_andn2_saveexec_b64 s[88:89], s[88:89]
; %bb.679:                              ;   in Loop: Header=BB2_601 Depth=2
	v_cmp_lt_i16_e64 s[18:19], -1, v17
	v_cndmask_b32_e64 v0, v8, v54, s[18:19]
	v_cmp_eq_u32_e64 s[18:19], 0, v18
	v_cndmask_b32_e64 v0, v55, v0, s[18:19]
; %bb.680:                              ;   in Loop: Header=BB2_601 Depth=2
	s_or_b64 exec, exec, s[88:89]
.LBB2_681:                              ;   in Loop: Header=BB2_601 Depth=2
	s_or_b64 exec, exec, s[78:79]
.LBB2_682:                              ;   in Loop: Header=BB2_601 Depth=2
	s_or_b64 exec, exec, s[76:77]
	v_cmp_ne_u16_e64 s[18:19], 0, v27
	s_and_saveexec_b64 s[76:77], s[18:19]
	s_cbranch_execz .LBB2_690
; %bb.683:                              ;   in Loop: Header=BB2_601 Depth=2
	v_cmp_ne_u16_e64 s[18:19], s50, v27
	v_bfrev_b32_e32 v4, 1
	s_and_saveexec_b64 s[78:79], s[18:19]
	s_cbranch_execz .LBB2_689
; %bb.684:                              ;   in Loop: Header=BB2_601 Depth=2
	v_and_b32_e32 v3, 0x7c, v27
	v_and_b32_e32 v2, 3, v27
	v_cmp_ne_u32_e64 s[18:19], s49, v3
                                        ; implicit-def: $vgpr4
	s_and_saveexec_b64 s[88:89], s[18:19]
	s_xor_b64 s[88:89], exec, s[88:89]
	s_cbranch_execz .LBB2_686
; %bb.685:                              ;   in Loop: Header=BB2_601 Depth=2
	v_ffbh_u32_e32 v3, v2
	v_min_u32_e32 v23, 32, v3
	v_mov_b32_e32 v28, v59
	v_subrev_u32_e32 v3, 29, v23
	v_lshlrev_b64 v[3:4], v3, v[27:28]
	v_bfe_u32 v18, v27, 2, 5
	v_and_b32_e32 v3, 3, v3
	v_cmp_eq_u32_e64 s[18:19], 0, v18
	v_sub_u32_e32 v4, 30, v23
	v_cndmask_b32_e64 v2, v2, v3, s[18:19]
	v_lshlrev_b32_e32 v3, 16, v58
	v_cndmask_b32_e64 v4, v18, v4, s[18:19]
	v_and_b32_e32 v3, 0x80000000, v3
	v_lshl_add_u32 v3, v4, 23, v3
	v_lshl_or_b32 v2, v2, 21, v3
	v_add_u32_e32 v4, 0x38000000, v2
                                        ; implicit-def: $vgpr2
.LBB2_686:                              ;   in Loop: Header=BB2_601 Depth=2
	s_andn2_saveexec_b64 s[88:89], s[88:89]
; %bb.687:                              ;   in Loop: Header=BB2_601 Depth=2
	v_cmp_lt_i16_e64 s[18:19], -1, v58
	v_cndmask_b32_e64 v3, v8, v54, s[18:19]
	v_cmp_eq_u32_e64 s[18:19], 0, v2
	v_cndmask_b32_e64 v4, v55, v3, s[18:19]
; %bb.688:                              ;   in Loop: Header=BB2_601 Depth=2
	s_or_b64 exec, exec, s[88:89]
.LBB2_689:                              ;   in Loop: Header=BB2_601 Depth=2
	s_or_b64 exec, exec, s[78:79]
.LBB2_690:                              ;   in Loop: Header=BB2_601 Depth=2
	s_or_b64 exec, exec, s[76:77]
	v_max_f32_e32 v2, v4, v4
	v_max_f32_e32 v0, v0, v0
	;; [unrolled: 1-line block ×3, first 2 shown]
                                        ; implicit-def: $vgpr27
                                        ; implicit-def: $vgpr2
.LBB2_691:                              ;   in Loop: Header=BB2_601 Depth=2
	s_andn2_saveexec_b64 s[18:19], s[74:75]
	s_cbranch_execz .LBB2_709
; %bb.692:                              ;   in Loop: Header=BB2_601 Depth=2
	v_mov_b32_e32 v4, 0
	v_mov_b32_e32 v0, 0
	s_and_saveexec_b64 s[74:75], vcc
	s_cbranch_execz .LBB2_700
; %bb.693:                              ;   in Loop: Header=BB2_601 Depth=2
	v_cmp_ne_u16_e32 vcc, s50, v2
	v_bfrev_b32_e32 v0, 1
	s_and_saveexec_b64 s[76:77], vcc
	s_cbranch_execz .LBB2_699
; %bb.694:                              ;   in Loop: Header=BB2_601 Depth=2
	v_and_b32_e32 v0, 0x7c, v2
	v_and_b32_e32 v18, 3, v2
	v_cmp_ne_u32_e32 vcc, s49, v0
                                        ; implicit-def: $vgpr0
	s_and_saveexec_b64 s[78:79], vcc
	s_xor_b64 s[78:79], exec, s[78:79]
	s_cbranch_execz .LBB2_696
; %bb.695:                              ;   in Loop: Header=BB2_601 Depth=2
	v_ffbh_u32_e32 v23, v18
	v_min_u32_e32 v23, 32, v23
	v_mov_b32_e32 v3, v59
	v_subrev_u32_e32 v28, 29, v23
	v_bfe_u32 v0, v2, 2, 5
	v_lshlrev_b64 v[2:3], v28, v[2:3]
	v_sub_u32_e32 v3, 30, v23
	v_cmp_eq_u32_e32 vcc, 0, v0
	v_cndmask_b32_e32 v0, v0, v3, vcc
	v_lshlrev_b32_e32 v3, 16, v17
	v_and_b32_e32 v2, 3, v2
	v_and_b32_e32 v3, 0x80000000, v3
	v_cndmask_b32_e32 v2, v18, v2, vcc
	v_lshl_add_u32 v0, v0, 23, v3
	v_lshl_or_b32 v0, v2, 21, v0
	v_add_u32_e32 v0, 0x38000000, v0
                                        ; implicit-def: $vgpr18
.LBB2_696:                              ;   in Loop: Header=BB2_601 Depth=2
	s_andn2_saveexec_b64 s[78:79], s[78:79]
; %bb.697:                              ;   in Loop: Header=BB2_601 Depth=2
	v_cmp_lt_i16_e32 vcc, -1, v17
	v_cndmask_b32_e32 v0, v8, v54, vcc
	v_cmp_eq_u32_e32 vcc, 0, v18
	v_cndmask_b32_e32 v0, v55, v0, vcc
; %bb.698:                              ;   in Loop: Header=BB2_601 Depth=2
	s_or_b64 exec, exec, s[78:79]
.LBB2_699:                              ;   in Loop: Header=BB2_601 Depth=2
	s_or_b64 exec, exec, s[76:77]
.LBB2_700:                              ;   in Loop: Header=BB2_601 Depth=2
	s_or_b64 exec, exec, s[74:75]
	v_cmp_ne_u16_e32 vcc, 0, v27
	s_and_saveexec_b64 s[74:75], vcc
	s_cbranch_execz .LBB2_708
; %bb.701:                              ;   in Loop: Header=BB2_601 Depth=2
	v_cmp_ne_u16_e32 vcc, s50, v27
	v_bfrev_b32_e32 v4, 1
	s_and_saveexec_b64 s[76:77], vcc
	s_cbranch_execz .LBB2_707
; %bb.702:                              ;   in Loop: Header=BB2_601 Depth=2
	v_and_b32_e32 v3, 0x7c, v27
	v_and_b32_e32 v2, 3, v27
	v_cmp_ne_u32_e32 vcc, s49, v3
                                        ; implicit-def: $vgpr4
	s_and_saveexec_b64 s[78:79], vcc
	s_xor_b64 s[78:79], exec, s[78:79]
	s_cbranch_execz .LBB2_704
; %bb.703:                              ;   in Loop: Header=BB2_601 Depth=2
	v_ffbh_u32_e32 v3, v2
	v_min_u32_e32 v23, 32, v3
	v_mov_b32_e32 v28, v59
	v_subrev_u32_e32 v3, 29, v23
	v_lshlrev_b64 v[3:4], v3, v[27:28]
	v_bfe_u32 v18, v27, 2, 5
	v_and_b32_e32 v3, 3, v3
	v_cmp_eq_u32_e32 vcc, 0, v18
	v_sub_u32_e32 v4, 30, v23
	v_cndmask_b32_e32 v2, v2, v3, vcc
	v_lshlrev_b32_e32 v3, 16, v58
	v_cndmask_b32_e32 v4, v18, v4, vcc
	v_and_b32_e32 v3, 0x80000000, v3
	v_lshl_add_u32 v3, v4, 23, v3
	v_lshl_or_b32 v2, v2, 21, v3
	v_add_u32_e32 v4, 0x38000000, v2
                                        ; implicit-def: $vgpr2
.LBB2_704:                              ;   in Loop: Header=BB2_601 Depth=2
	s_andn2_saveexec_b64 s[78:79], s[78:79]
; %bb.705:                              ;   in Loop: Header=BB2_601 Depth=2
	v_cmp_lt_i16_e32 vcc, -1, v58
	v_cndmask_b32_e32 v3, v8, v54, vcc
	v_cmp_eq_u32_e32 vcc, 0, v2
	v_cndmask_b32_e32 v4, v55, v3, vcc
; %bb.706:                              ;   in Loop: Header=BB2_601 Depth=2
	s_or_b64 exec, exec, s[78:79]
.LBB2_707:                              ;   in Loop: Header=BB2_601 Depth=2
	s_or_b64 exec, exec, s[76:77]
.LBB2_708:                              ;   in Loop: Header=BB2_601 Depth=2
	s_or_b64 exec, exec, s[74:75]
	v_max_f32_e32 v2, v4, v4
	v_max_f32_e32 v0, v0, v0
	v_min_f32_e32 v4, v0, v2
.LBB2_709:                              ;   in Loop: Header=BB2_601 Depth=2
	s_or_b64 exec, exec, s[18:19]
	v_and_b32_e32 v27, 0x7f800000, v4
	v_mov_b32_e32 v28, v59
	v_cmp_ne_u64_e32 vcc, s[58:59], v[27:28]
	v_and_b32_e32 v2, 0x7fffff, v4
	v_mov_b32_e32 v3, v59
                                        ; implicit-def: $vgpr32
	s_and_saveexec_b64 s[18:19], vcc
	s_xor_b64 s[74:75], exec, s[18:19]
	s_cbranch_execz .LBB2_723
; %bb.710:                              ;   in Loop: Header=BB2_601 Depth=2
	v_and_b32_e32 v27, 0x7fffffff, v4
	v_mov_b32_e32 v28, v59
	v_cmp_gt_u64_e32 vcc, s[60:61], v[27:28]
	v_and_b32_sdwa v0, v4, s50 dst_sel:DWORD dst_unused:UNUSED_PAD src0_sel:BYTE_3 src1_sel:DWORD
                                        ; implicit-def: $vgpr32
	s_and_saveexec_b64 s[18:19], vcc
	s_xor_b64 s[76:77], exec, s[18:19]
	s_cbranch_execz .LBB2_720
; %bb.711:                              ;   in Loop: Header=BB2_601 Depth=2
	v_mov_b32_e32 v32, 0
	v_cmp_ne_u32_e32 vcc, 0, v4
	s_and_saveexec_b64 s[78:79], vcc
	s_cbranch_execz .LBB2_719
; %bb.712:                              ;   in Loop: Header=BB2_601 Depth=2
	v_bfe_u32 v18, v4, 23, 8
	v_cmp_gt_u32_e64 s[18:19], s51, v18
	v_sub_u32_e32 v4, 0x71, v18
	v_cmp_eq_u32_e32 vcc, 0, v18
	v_cndmask_b32_e64 v4, 0, v4, s[18:19]
	v_cndmask_b32_e32 v23, v4, v25, vcc
	v_or_b32_e32 v27, 0x800000, v2
	v_add_u32_e32 v4, 21, v23
	v_cndmask_b32_e32 v2, v27, v2, vcc
	v_lshlrev_b64 v[27:28], v4, -1
	v_add_u32_e32 v4, 20, v23
	v_bfi_b32 v27, v27, 0, v2
	v_lshlrev_b64 v[38:39], v4, 1
	v_lshrrev_b64 v[2:3], v23, v[2:3]
	v_bfi_b32 v28, v28, 0, 0
	v_cmp_eq_u64_e64 s[18:19], v[27:28], v[38:39]
	v_mov_b32_e32 v4, v3
	v_mov_b32_e32 v3, v2
	s_and_saveexec_b64 s[88:89], s[18:19]
; %bb.713:                              ;   in Loop: Header=BB2_601 Depth=2
	v_bfe_u32 v3, v2, 21, 1
	v_add_co_u32_e64 v3, s[18:19], v2, v3
	v_add_co_u32_e64 v3, s[18:19], -1, v3
; %bb.714:                              ;   in Loop: Header=BB2_601 Depth=2
	s_or_b64 exec, exec, s[88:89]
	v_add_u32_e32 v4, 0xffffff81, v18
	v_cndmask_b32_e32 v4, v4, v48, vcc
	v_lshrrev_b32_e32 v18, 23, v2
	v_add3_u32 v23, v23, v4, v18
	v_add_u32_e32 v18, 14, v23
	v_and_b32_e32 v3, 0x1fffff, v3
	v_add_u32_e32 v2, v3, v2
	v_mov_b32_e32 v3, v59
	v_cmp_ne_u32_e32 vcc, 0, v18
                                        ; implicit-def: $vgpr4
	s_and_saveexec_b64 s[18:19], vcc
	s_xor_b64 s[18:19], exec, s[18:19]
; %bb.715:                              ;   in Loop: Header=BB2_601 Depth=2
	v_cmp_lt_u64_e32 vcc, s[62:63], v[2:3]
	v_add_u32_e32 v4, 15, v23
	v_cndmask_b32_e32 v4, v18, v4, vcc
	v_cndmask_b32_e64 v18, 0, 1, vcc
	v_lshrrev_b64 v[2:3], v18, v[2:3]
; %bb.716:                              ;   in Loop: Header=BB2_601 Depth=2
	s_andn2_saveexec_b64 s[18:19], s[18:19]
; %bb.717:                              ;   in Loop: Header=BB2_601 Depth=2
	v_bfe_u32 v4, v2, 23, 1
; %bb.718:                              ;   in Loop: Header=BB2_601 Depth=2
	s_or_b64 exec, exec, s[18:19]
	v_lshrrev_b64 v[2:3], 21, v[2:3]
	v_cmp_gt_i32_e32 vcc, 32, v4
	v_cndmask_b32_e32 v3, 0, v3, vcc
	v_cndmask_b32_e32 v2, 3, v2, vcc
	v_cmp_eq_u64_e64 s[18:19], 0, v[2:3]
	v_min_i32_e32 v3, 31, v4
	v_lshlrev_b32_e32 v3, 2, v3
	v_cmp_eq_u32_e32 vcc, 0, v4
	v_and_b32_e32 v3, 0xfc, v3
	v_and_or_b32 v2, v2, 3, v3
	s_and_b64 s[18:19], vcc, s[18:19]
	v_cndmask_b32_e64 v2, v2, 0, s[18:19]
	v_or_b32_e32 v32, v2, v0
.LBB2_719:                              ;   in Loop: Header=BB2_601 Depth=2
	s_or_b64 exec, exec, s[78:79]
                                        ; implicit-def: $vgpr0
.LBB2_720:                              ;   in Loop: Header=BB2_601 Depth=2
	s_andn2_saveexec_b64 s[18:19], s[76:77]
; %bb.721:                              ;   in Loop: Header=BB2_601 Depth=2
	v_or_b32_e32 v32, 0x7b, v0
; %bb.722:                              ;   in Loop: Header=BB2_601 Depth=2
	s_or_b64 exec, exec, s[18:19]
                                        ; implicit-def: $vgpr4
                                        ; implicit-def: $vgpr2_vgpr3
.LBB2_723:                              ;   in Loop: Header=BB2_601 Depth=2
	s_andn2_saveexec_b64 s[18:19], s[74:75]
	s_cbranch_execz .LBB2_729
; %bb.724:                              ;   in Loop: Header=BB2_601 Depth=2
	v_cmp_ne_u64_e32 vcc, 0, v[2:3]
                                        ; implicit-def: $vgpr32
	s_and_saveexec_b64 s[74:75], vcc
	s_xor_b64 s[74:75], exec, s[74:75]
; %bb.725:                              ;   in Loop: Header=BB2_601 Depth=2
	v_or_b32_sdwa v32, v4, s52 dst_sel:DWORD dst_unused:UNUSED_PAD src0_sel:BYTE_3 src1_sel:DWORD
                                        ; implicit-def: $vgpr4
; %bb.726:                              ;   in Loop: Header=BB2_601 Depth=2
	s_andn2_saveexec_b64 s[74:75], s[74:75]
; %bb.727:                              ;   in Loop: Header=BB2_601 Depth=2
	v_cmp_lt_i32_e32 vcc, -1, v4
	v_cndmask_b32_e32 v32, v49, v31, vcc
; %bb.728:                              ;   in Loop: Header=BB2_601 Depth=2
	s_or_b64 exec, exec, s[74:75]
.LBB2_729:                              ;   in Loop: Header=BB2_601 Depth=2
	s_or_b64 exec, exec, s[18:19]
	v_lshrrev_b32_e32 v18, 16, v17
	v_lshrrev_b32_e32 v0, 16, v58
	v_cmp_ne_u16_sdwa s[18:19], v18, v59 src0_sel:BYTE_0 src1_sel:DWORD
                                        ; implicit-def: $vgpr4
	s_and_saveexec_b64 s[74:75], s[14:15]
	s_xor_b64 s[74:75], exec, s[74:75]
	s_cbranch_execz .LBB2_747
; %bb.730:                              ;   in Loop: Header=BB2_601 Depth=2
	v_mov_b32_e32 v3, 0
	v_mov_b32_e32 v2, 0
	s_and_saveexec_b64 s[76:77], s[18:19]
	s_cbranch_execz .LBB2_738
; %bb.731:                              ;   in Loop: Header=BB2_601 Depth=2
	v_cmp_ne_u16_sdwa s[88:89], v18, s50 src0_sel:BYTE_0 src1_sel:DWORD
	v_bfrev_b32_e32 v2, 1
	s_and_saveexec_b64 s[78:79], s[88:89]
	s_cbranch_execz .LBB2_737
; %bb.732:                              ;   in Loop: Header=BB2_601 Depth=2
	v_and_b32_e32 v2, 0x7c0000, v17
	v_bfe_u32 v4, v17, 16, 2
	v_cmp_ne_u32_e32 vcc, s53, v2
                                        ; implicit-def: $vgpr2
	s_and_saveexec_b64 s[88:89], vcc
	s_xor_b64 s[88:89], exec, s[88:89]
	s_cbranch_execz .LBB2_734
; %bb.733:                              ;   in Loop: Header=BB2_601 Depth=2
	v_ffbh_u32_e32 v23, v4
	v_min_u32_e32 v23, 32, v23
	v_subrev_u32_e32 v27, 29, v23
	v_bfe_u32 v2, v17, 18, 5
	v_lshlrev_b64 v[27:28], v27, v[18:19]
	v_sub_u32_e32 v23, 30, v23
	v_cmp_eq_u32_e32 vcc, 0, v2
	v_lshlrev_b32_e32 v18, 24, v18
	v_and_b32_e32 v27, 3, v27
	v_cndmask_b32_e32 v2, v2, v23, vcc
	v_and_b32_e32 v18, 0x80000000, v18
	v_cndmask_b32_e32 v4, v4, v27, vcc
	v_lshl_add_u32 v2, v2, 23, v18
	v_lshl_or_b32 v2, v4, 21, v2
	v_add_u32_e32 v2, 0x38000000, v2
                                        ; implicit-def: $vgpr4
                                        ; implicit-def: $vgpr18
.LBB2_734:                              ;   in Loop: Header=BB2_601 Depth=2
	s_andn2_saveexec_b64 s[88:89], s[88:89]
; %bb.735:                              ;   in Loop: Header=BB2_601 Depth=2
	v_cmp_gt_i16_sdwa vcc, sext(v18), v43 src0_sel:BYTE_0 src1_sel:DWORD
	v_cndmask_b32_e32 v2, v8, v54, vcc
	v_cmp_eq_u32_e32 vcc, 0, v4
	v_cndmask_b32_e32 v2, v55, v2, vcc
; %bb.736:                              ;   in Loop: Header=BB2_601 Depth=2
	s_or_b64 exec, exec, s[88:89]
.LBB2_737:                              ;   in Loop: Header=BB2_601 Depth=2
	s_or_b64 exec, exec, s[78:79]
.LBB2_738:                              ;   in Loop: Header=BB2_601 Depth=2
	s_or_b64 exec, exec, s[76:77]
	v_and_b32_sdwa v18, v58, s39 dst_sel:DWORD dst_unused:UNUSED_PAD src0_sel:WORD_1 src1_sel:DWORD
	v_lshrrev_b32_e32 v4, 16, v58
	v_cmp_ne_u16_e32 vcc, 0, v18
	s_and_saveexec_b64 s[76:77], vcc
	s_cbranch_execz .LBB2_746
; %bb.739:                              ;   in Loop: Header=BB2_601 Depth=2
	v_cmp_ne_u16_e32 vcc, s50, v18
	v_bfrev_b32_e32 v3, 1
	s_and_saveexec_b64 s[78:79], vcc
	s_cbranch_execz .LBB2_745
; %bb.740:                              ;   in Loop: Header=BB2_601 Depth=2
	v_and_b32_e32 v3, 0x7c0000, v58
	v_bfe_u32 v18, v58, 16, 2
	v_cmp_ne_u32_e32 vcc, s53, v3
                                        ; implicit-def: $vgpr3
	s_and_saveexec_b64 s[88:89], vcc
	s_xor_b64 s[88:89], exec, s[88:89]
	s_cbranch_execz .LBB2_742
; %bb.741:                              ;   in Loop: Header=BB2_601 Depth=2
	v_ffbh_u32_e32 v3, v18
	v_min_u32_e32 v27, 32, v3
	v_subrev_u32_e32 v3, 29, v27
	v_bfe_u32 v23, v58, 18, 5
	v_lshlrev_b64 v[3:4], v3, v[0:1]
	v_sub_u32_e32 v4, 30, v27
	v_cmp_eq_u32_e32 vcc, 0, v23
	v_lshlrev_b32_e32 v0, 24, v0
	v_and_b32_e32 v3, 3, v3
	v_cndmask_b32_e32 v4, v23, v4, vcc
	v_and_b32_e32 v0, 0x80000000, v0
	v_cndmask_b32_e32 v3, v18, v3, vcc
	v_lshl_add_u32 v0, v4, 23, v0
	v_lshl_or_b32 v0, v3, 21, v0
	v_add_u32_e32 v3, 0x38000000, v0
                                        ; implicit-def: $vgpr18
                                        ; implicit-def: $vgpr4
.LBB2_742:                              ;   in Loop: Header=BB2_601 Depth=2
	s_andn2_saveexec_b64 s[88:89], s[88:89]
; %bb.743:                              ;   in Loop: Header=BB2_601 Depth=2
	v_cmp_gt_i16_sdwa vcc, sext(v4), v43 src0_sel:BYTE_0 src1_sel:DWORD
	v_cndmask_b32_e32 v0, v8, v54, vcc
	v_cmp_eq_u32_e32 vcc, 0, v18
	v_cndmask_b32_e32 v3, v55, v0, vcc
; %bb.744:                              ;   in Loop: Header=BB2_601 Depth=2
	s_or_b64 exec, exec, s[88:89]
.LBB2_745:                              ;   in Loop: Header=BB2_601 Depth=2
	s_or_b64 exec, exec, s[78:79]
.LBB2_746:                              ;   in Loop: Header=BB2_601 Depth=2
	s_or_b64 exec, exec, s[76:77]
	v_max_f32_e32 v0, v3, v3
	v_max_f32_e32 v2, v2, v2
	;; [unrolled: 1-line block ×3, first 2 shown]
                                        ; implicit-def: $vgpr18
                                        ; implicit-def: $vgpr0
.LBB2_747:                              ;   in Loop: Header=BB2_601 Depth=2
	s_andn2_saveexec_b64 s[74:75], s[74:75]
	s_cbranch_execz .LBB2_765
; %bb.748:                              ;   in Loop: Header=BB2_601 Depth=2
	v_mov_b32_e32 v3, 0
	v_mov_b32_e32 v2, 0
	s_and_saveexec_b64 s[76:77], s[18:19]
	s_cbranch_execz .LBB2_756
; %bb.749:                              ;   in Loop: Header=BB2_601 Depth=2
	v_cmp_ne_u16_sdwa s[78:79], v18, s50 src0_sel:BYTE_0 src1_sel:DWORD
	v_bfrev_b32_e32 v2, 1
	s_and_saveexec_b64 s[18:19], s[78:79]
	s_cbranch_execz .LBB2_755
; %bb.750:                              ;   in Loop: Header=BB2_601 Depth=2
	v_and_b32_e32 v2, 0x7c0000, v17
	v_bfe_u32 v4, v17, 16, 2
	v_cmp_ne_u32_e32 vcc, s53, v2
                                        ; implicit-def: $vgpr2
	s_and_saveexec_b64 s[78:79], vcc
	s_xor_b64 s[78:79], exec, s[78:79]
	s_cbranch_execz .LBB2_752
; %bb.751:                              ;   in Loop: Header=BB2_601 Depth=2
	v_ffbh_u32_e32 v23, v4
	v_min_u32_e32 v23, 32, v23
	v_subrev_u32_e32 v27, 29, v23
	v_bfe_u32 v2, v17, 18, 5
	v_lshlrev_b64 v[27:28], v27, v[18:19]
	v_sub_u32_e32 v23, 30, v23
	v_cmp_eq_u32_e32 vcc, 0, v2
	v_lshlrev_b32_e32 v18, 24, v18
	v_and_b32_e32 v27, 3, v27
	v_cndmask_b32_e32 v2, v2, v23, vcc
	v_and_b32_e32 v18, 0x80000000, v18
	v_cndmask_b32_e32 v4, v4, v27, vcc
	v_lshl_add_u32 v2, v2, 23, v18
	v_lshl_or_b32 v2, v4, 21, v2
	v_add_u32_e32 v2, 0x38000000, v2
                                        ; implicit-def: $vgpr4
                                        ; implicit-def: $vgpr18
.LBB2_752:                              ;   in Loop: Header=BB2_601 Depth=2
	s_andn2_saveexec_b64 s[78:79], s[78:79]
; %bb.753:                              ;   in Loop: Header=BB2_601 Depth=2
	v_cmp_gt_i16_sdwa vcc, sext(v18), v43 src0_sel:BYTE_0 src1_sel:DWORD
	v_cndmask_b32_e32 v2, v8, v54, vcc
	v_cmp_eq_u32_e32 vcc, 0, v4
	v_cndmask_b32_e32 v2, v55, v2, vcc
; %bb.754:                              ;   in Loop: Header=BB2_601 Depth=2
	s_or_b64 exec, exec, s[78:79]
.LBB2_755:                              ;   in Loop: Header=BB2_601 Depth=2
	s_or_b64 exec, exec, s[18:19]
.LBB2_756:                              ;   in Loop: Header=BB2_601 Depth=2
	s_or_b64 exec, exec, s[76:77]
	v_and_b32_sdwa v18, v58, s39 dst_sel:DWORD dst_unused:UNUSED_PAD src0_sel:WORD_1 src1_sel:DWORD
	v_lshrrev_b32_e32 v4, 16, v58
	v_cmp_ne_u16_e32 vcc, 0, v18
	s_and_saveexec_b64 s[18:19], vcc
	s_cbranch_execz .LBB2_764
; %bb.757:                              ;   in Loop: Header=BB2_601 Depth=2
	v_cmp_ne_u16_e32 vcc, s50, v18
	v_bfrev_b32_e32 v3, 1
	s_and_saveexec_b64 s[76:77], vcc
	s_cbranch_execz .LBB2_763
; %bb.758:                              ;   in Loop: Header=BB2_601 Depth=2
	v_and_b32_e32 v3, 0x7c0000, v58
	v_bfe_u32 v18, v58, 16, 2
	v_cmp_ne_u32_e32 vcc, s53, v3
                                        ; implicit-def: $vgpr3
	s_and_saveexec_b64 s[78:79], vcc
	s_xor_b64 s[78:79], exec, s[78:79]
	s_cbranch_execz .LBB2_760
; %bb.759:                              ;   in Loop: Header=BB2_601 Depth=2
	v_ffbh_u32_e32 v3, v18
	v_min_u32_e32 v27, 32, v3
	v_subrev_u32_e32 v3, 29, v27
	v_bfe_u32 v23, v58, 18, 5
	v_lshlrev_b64 v[3:4], v3, v[0:1]
	v_sub_u32_e32 v4, 30, v27
	v_cmp_eq_u32_e32 vcc, 0, v23
	v_lshlrev_b32_e32 v0, 24, v0
	v_and_b32_e32 v3, 3, v3
	v_cndmask_b32_e32 v4, v23, v4, vcc
	v_and_b32_e32 v0, 0x80000000, v0
	v_cndmask_b32_e32 v3, v18, v3, vcc
	v_lshl_add_u32 v0, v4, 23, v0
	v_lshl_or_b32 v0, v3, 21, v0
	v_add_u32_e32 v3, 0x38000000, v0
                                        ; implicit-def: $vgpr18
                                        ; implicit-def: $vgpr4
.LBB2_760:                              ;   in Loop: Header=BB2_601 Depth=2
	s_andn2_saveexec_b64 s[78:79], s[78:79]
; %bb.761:                              ;   in Loop: Header=BB2_601 Depth=2
	v_cmp_gt_i16_sdwa vcc, sext(v4), v43 src0_sel:BYTE_0 src1_sel:DWORD
	v_cndmask_b32_e32 v0, v8, v54, vcc
	v_cmp_eq_u32_e32 vcc, 0, v18
	v_cndmask_b32_e32 v3, v55, v0, vcc
; %bb.762:                              ;   in Loop: Header=BB2_601 Depth=2
	s_or_b64 exec, exec, s[78:79]
.LBB2_763:                              ;   in Loop: Header=BB2_601 Depth=2
	s_or_b64 exec, exec, s[76:77]
.LBB2_764:                              ;   in Loop: Header=BB2_601 Depth=2
	s_or_b64 exec, exec, s[18:19]
	v_max_f32_e32 v0, v3, v3
	v_max_f32_e32 v2, v2, v2
	v_min_f32_e32 v4, v2, v0
.LBB2_765:                              ;   in Loop: Header=BB2_601 Depth=2
	s_or_b64 exec, exec, s[74:75]
	v_and_b32_e32 v27, 0x7f800000, v4
	v_mov_b32_e32 v28, v59
	v_cmp_ne_u64_e32 vcc, s[58:59], v[27:28]
	v_and_b32_e32 v2, 0x7fffff, v4
	v_mov_b32_e32 v3, v59
                                        ; implicit-def: $vgpr23
	s_and_saveexec_b64 s[18:19], vcc
	s_xor_b64 s[74:75], exec, s[18:19]
	s_cbranch_execz .LBB2_779
; %bb.766:                              ;   in Loop: Header=BB2_601 Depth=2
	v_and_b32_e32 v27, 0x7fffffff, v4
	v_mov_b32_e32 v28, v59
	v_cmp_gt_u64_e32 vcc, s[60:61], v[27:28]
	v_and_b32_sdwa v0, v4, s50 dst_sel:DWORD dst_unused:UNUSED_PAD src0_sel:BYTE_3 src1_sel:DWORD
                                        ; implicit-def: $vgpr23
	s_and_saveexec_b64 s[18:19], vcc
	s_xor_b64 s[76:77], exec, s[18:19]
	s_cbranch_execz .LBB2_776
; %bb.767:                              ;   in Loop: Header=BB2_601 Depth=2
	v_mov_b32_e32 v23, 0
	v_cmp_ne_u32_e32 vcc, 0, v4
	s_and_saveexec_b64 s[78:79], vcc
	s_cbranch_execz .LBB2_775
; %bb.768:                              ;   in Loop: Header=BB2_601 Depth=2
	v_bfe_u32 v18, v4, 23, 8
	v_cmp_gt_u32_e64 s[18:19], s51, v18
	v_sub_u32_e32 v4, 0x71, v18
	v_cmp_eq_u32_e32 vcc, 0, v18
	v_cndmask_b32_e64 v4, 0, v4, s[18:19]
	v_cndmask_b32_e32 v23, v4, v25, vcc
	v_or_b32_e32 v27, 0x800000, v2
	v_add_u32_e32 v4, 21, v23
	v_cndmask_b32_e32 v2, v27, v2, vcc
	v_lshlrev_b64 v[27:28], v4, -1
	v_add_u32_e32 v4, 20, v23
	v_bfi_b32 v27, v27, 0, v2
	v_lshlrev_b64 v[38:39], v4, 1
	v_lshrrev_b64 v[2:3], v23, v[2:3]
	v_bfi_b32 v28, v28, 0, 0
	v_cmp_eq_u64_e64 s[18:19], v[27:28], v[38:39]
	v_mov_b32_e32 v4, v3
	v_mov_b32_e32 v3, v2
	s_and_saveexec_b64 s[88:89], s[18:19]
; %bb.769:                              ;   in Loop: Header=BB2_601 Depth=2
	v_bfe_u32 v3, v2, 21, 1
	v_add_co_u32_e64 v3, s[18:19], v2, v3
	v_add_co_u32_e64 v3, s[18:19], -1, v3
; %bb.770:                              ;   in Loop: Header=BB2_601 Depth=2
	s_or_b64 exec, exec, s[88:89]
	v_add_u32_e32 v4, 0xffffff81, v18
	v_cndmask_b32_e32 v4, v4, v48, vcc
	v_lshrrev_b32_e32 v18, 23, v2
	v_add3_u32 v23, v23, v4, v18
	v_add_u32_e32 v18, 14, v23
	v_and_b32_e32 v3, 0x1fffff, v3
	v_add_u32_e32 v2, v3, v2
	v_mov_b32_e32 v3, v59
	v_cmp_ne_u32_e32 vcc, 0, v18
                                        ; implicit-def: $vgpr4
	s_and_saveexec_b64 s[18:19], vcc
	s_xor_b64 s[18:19], exec, s[18:19]
; %bb.771:                              ;   in Loop: Header=BB2_601 Depth=2
	v_cmp_lt_u64_e32 vcc, s[62:63], v[2:3]
	v_add_u32_e32 v4, 15, v23
	v_cndmask_b32_e32 v4, v18, v4, vcc
	v_cndmask_b32_e64 v18, 0, 1, vcc
	v_lshrrev_b64 v[2:3], v18, v[2:3]
; %bb.772:                              ;   in Loop: Header=BB2_601 Depth=2
	s_andn2_saveexec_b64 s[18:19], s[18:19]
; %bb.773:                              ;   in Loop: Header=BB2_601 Depth=2
	v_bfe_u32 v4, v2, 23, 1
; %bb.774:                              ;   in Loop: Header=BB2_601 Depth=2
	s_or_b64 exec, exec, s[18:19]
	v_lshrrev_b64 v[2:3], 21, v[2:3]
	v_cmp_gt_i32_e32 vcc, 32, v4
	v_cndmask_b32_e32 v3, 0, v3, vcc
	v_cndmask_b32_e32 v2, 3, v2, vcc
	v_cmp_eq_u64_e64 s[18:19], 0, v[2:3]
	v_min_i32_e32 v3, 31, v4
	v_lshlrev_b32_e32 v3, 2, v3
	v_cmp_eq_u32_e32 vcc, 0, v4
	v_and_b32_e32 v3, 0xfc, v3
	v_and_or_b32 v2, v2, 3, v3
	s_and_b64 s[18:19], vcc, s[18:19]
	v_cndmask_b32_e64 v2, v2, 0, s[18:19]
	v_or_b32_e32 v23, v2, v0
.LBB2_775:                              ;   in Loop: Header=BB2_601 Depth=2
	s_or_b64 exec, exec, s[78:79]
                                        ; implicit-def: $vgpr0
.LBB2_776:                              ;   in Loop: Header=BB2_601 Depth=2
	s_andn2_saveexec_b64 s[18:19], s[76:77]
; %bb.777:                              ;   in Loop: Header=BB2_601 Depth=2
	v_or_b32_e32 v23, 0x7b, v0
; %bb.778:                              ;   in Loop: Header=BB2_601 Depth=2
	s_or_b64 exec, exec, s[18:19]
                                        ; implicit-def: $vgpr4
                                        ; implicit-def: $vgpr2_vgpr3
.LBB2_779:                              ;   in Loop: Header=BB2_601 Depth=2
	s_andn2_saveexec_b64 s[18:19], s[74:75]
	s_cbranch_execz .LBB2_785
; %bb.780:                              ;   in Loop: Header=BB2_601 Depth=2
	v_cmp_ne_u64_e32 vcc, 0, v[2:3]
                                        ; implicit-def: $vgpr23
	s_and_saveexec_b64 s[74:75], vcc
	s_xor_b64 s[74:75], exec, s[74:75]
; %bb.781:                              ;   in Loop: Header=BB2_601 Depth=2
	v_or_b32_sdwa v23, v4, s52 dst_sel:DWORD dst_unused:UNUSED_PAD src0_sel:BYTE_3 src1_sel:DWORD
                                        ; implicit-def: $vgpr4
; %bb.782:                              ;   in Loop: Header=BB2_601 Depth=2
	s_andn2_saveexec_b64 s[74:75], s[74:75]
; %bb.783:                              ;   in Loop: Header=BB2_601 Depth=2
	v_cmp_lt_i32_e32 vcc, -1, v4
	v_cndmask_b32_e32 v23, v49, v31, vcc
; %bb.784:                              ;   in Loop: Header=BB2_601 Depth=2
	s_or_b64 exec, exec, s[74:75]
.LBB2_785:                              ;   in Loop: Header=BB2_601 Depth=2
	s_or_b64 exec, exec, s[18:19]
	v_lshrrev_b32_e32 v18, 24, v17
	v_lshrrev_b32_e32 v0, 24, v58
	v_cmp_lt_u32_e32 vcc, s57, v17
                                        ; implicit-def: $vgpr2
	s_and_saveexec_b64 s[18:19], s[14:15]
	s_xor_b64 s[74:75], exec, s[18:19]
	s_cbranch_execz .LBB2_803
; %bb.786:                              ;   in Loop: Header=BB2_601 Depth=2
	v_mov_b32_e32 v3, 0
	v_mov_b32_e32 v2, 0
	s_and_saveexec_b64 s[76:77], vcc
	s_cbranch_execz .LBB2_794
; %bb.787:                              ;   in Loop: Header=BB2_601 Depth=2
	v_cmp_ne_u32_e64 s[18:19], s50, v18
	v_bfrev_b32_e32 v2, 1
	s_and_saveexec_b64 s[78:79], s[18:19]
	s_cbranch_execz .LBB2_793
; %bb.788:                              ;   in Loop: Header=BB2_601 Depth=2
	v_and_b32_e32 v2, 0x7c000000, v17
	v_bfe_u32 v4, v17, 24, 2
	v_cmp_ne_u32_e64 s[18:19], s54, v2
                                        ; implicit-def: $vgpr2
	s_and_saveexec_b64 s[88:89], s[18:19]
	s_xor_b64 s[88:89], exec, s[88:89]
	s_cbranch_execz .LBB2_790
; %bb.789:                              ;   in Loop: Header=BB2_601 Depth=2
	v_ffbh_u32_e32 v27, v4
	v_min_u32_e32 v36, 32, v27
	v_subrev_u32_e32 v27, 29, v36
	v_bfe_u32 v2, v17, 26, 5
	v_lshlrev_b64 v[27:28], v27, v[18:19]
	v_sub_u32_e32 v18, 30, v36
	v_cmp_eq_u32_e64 s[18:19], 0, v2
	v_and_b32_e32 v27, 3, v27
	v_cndmask_b32_e64 v2, v2, v18, s[18:19]
	v_and_b32_e32 v17, 0x80000000, v17
	v_cndmask_b32_e64 v4, v4, v27, s[18:19]
	v_lshl_add_u32 v2, v2, 23, v17
	v_lshl_or_b32 v2, v4, 21, v2
	v_add_u32_e32 v2, 0x38000000, v2
                                        ; implicit-def: $vgpr4
.LBB2_790:                              ;   in Loop: Header=BB2_601 Depth=2
	s_andn2_saveexec_b64 s[88:89], s[88:89]
; %bb.791:                              ;   in Loop: Header=BB2_601 Depth=2
	v_cmp_lt_i32_e64 s[18:19], -1, v17
	v_cndmask_b32_e64 v2, v8, v54, s[18:19]
	v_cmp_eq_u32_e64 s[18:19], 0, v4
	v_cndmask_b32_e64 v2, v55, v2, s[18:19]
; %bb.792:                              ;   in Loop: Header=BB2_601 Depth=2
	s_or_b64 exec, exec, s[88:89]
.LBB2_793:                              ;   in Loop: Header=BB2_601 Depth=2
	s_or_b64 exec, exec, s[78:79]
.LBB2_794:                              ;   in Loop: Header=BB2_601 Depth=2
	s_or_b64 exec, exec, s[76:77]
	v_cmp_lt_u32_e64 s[18:19], s57, v58
	s_and_saveexec_b64 s[76:77], s[18:19]
	s_cbranch_execz .LBB2_802
; %bb.795:                              ;   in Loop: Header=BB2_601 Depth=2
	v_cmp_ne_u32_e64 s[18:19], s50, v0
	v_bfrev_b32_e32 v3, 1
	s_and_saveexec_b64 s[78:79], s[18:19]
	s_cbranch_execz .LBB2_801
; %bb.796:                              ;   in Loop: Header=BB2_601 Depth=2
	v_and_b32_e32 v3, 0x7c000000, v58
	v_bfe_u32 v4, v58, 24, 2
	v_cmp_ne_u32_e64 s[18:19], s54, v3
                                        ; implicit-def: $vgpr3
	s_and_saveexec_b64 s[88:89], s[18:19]
	s_xor_b64 s[88:89], exec, s[88:89]
	s_cbranch_execz .LBB2_798
; %bb.797:                              ;   in Loop: Header=BB2_601 Depth=2
	v_ffbh_u32_e32 v17, v4
	v_min_u32_e32 v27, 32, v17
	v_subrev_u32_e32 v17, 29, v27
	v_lshlrev_b64 v[17:18], v17, v[0:1]
	v_bfe_u32 v3, v58, 26, 5
	v_sub_u32_e32 v0, 30, v27
	v_and_b32_e32 v17, 3, v17
	v_cmp_eq_u32_e64 s[18:19], 0, v3
	v_cndmask_b32_e64 v0, v3, v0, s[18:19]
	v_cndmask_b32_e64 v3, v4, v17, s[18:19]
	v_and_b32_e32 v4, 0x80000000, v58
	v_lshl_add_u32 v0, v0, 23, v4
	v_lshl_or_b32 v0, v3, 21, v0
	v_add_u32_e32 v3, 0x38000000, v0
                                        ; implicit-def: $vgpr4
.LBB2_798:                              ;   in Loop: Header=BB2_601 Depth=2
	s_andn2_saveexec_b64 s[88:89], s[88:89]
; %bb.799:                              ;   in Loop: Header=BB2_601 Depth=2
	v_cmp_lt_i32_e64 s[18:19], -1, v58
	v_cndmask_b32_e64 v0, v8, v54, s[18:19]
	v_cmp_eq_u32_e64 s[18:19], 0, v4
	v_cndmask_b32_e64 v3, v55, v0, s[18:19]
; %bb.800:                              ;   in Loop: Header=BB2_601 Depth=2
	s_or_b64 exec, exec, s[88:89]
.LBB2_801:                              ;   in Loop: Header=BB2_601 Depth=2
	s_or_b64 exec, exec, s[78:79]
.LBB2_802:                              ;   in Loop: Header=BB2_601 Depth=2
	s_or_b64 exec, exec, s[76:77]
	v_max_f32_e32 v0, v3, v3
	v_max_f32_e32 v2, v2, v2
	;; [unrolled: 1-line block ×3, first 2 shown]
                                        ; implicit-def: $vgpr0
                                        ; implicit-def: $vgpr18
.LBB2_803:                              ;   in Loop: Header=BB2_601 Depth=2
	s_andn2_saveexec_b64 s[18:19], s[74:75]
	s_cbranch_execz .LBB2_821
; %bb.804:                              ;   in Loop: Header=BB2_601 Depth=2
	v_mov_b32_e32 v3, 0
	v_mov_b32_e32 v2, 0
	s_and_saveexec_b64 s[74:75], vcc
	s_cbranch_execz .LBB2_812
; %bb.805:                              ;   in Loop: Header=BB2_601 Depth=2
	v_cmp_ne_u32_e32 vcc, s50, v18
	v_bfrev_b32_e32 v2, 1
	s_and_saveexec_b64 s[76:77], vcc
	s_cbranch_execz .LBB2_811
; %bb.806:                              ;   in Loop: Header=BB2_601 Depth=2
	v_and_b32_e32 v2, 0x7c000000, v17
	v_bfe_u32 v4, v17, 24, 2
	v_cmp_ne_u32_e32 vcc, s54, v2
                                        ; implicit-def: $vgpr2
	s_and_saveexec_b64 s[78:79], vcc
	s_xor_b64 s[78:79], exec, s[78:79]
	s_cbranch_execz .LBB2_808
; %bb.807:                              ;   in Loop: Header=BB2_601 Depth=2
	v_ffbh_u32_e32 v27, v4
	v_min_u32_e32 v36, 32, v27
	v_subrev_u32_e32 v27, 29, v36
	v_bfe_u32 v2, v17, 26, 5
	v_lshlrev_b64 v[27:28], v27, v[18:19]
	v_sub_u32_e32 v18, 30, v36
	v_cmp_eq_u32_e32 vcc, 0, v2
	v_and_b32_e32 v27, 3, v27
	v_cndmask_b32_e32 v2, v2, v18, vcc
	v_and_b32_e32 v17, 0x80000000, v17
	v_cndmask_b32_e32 v4, v4, v27, vcc
	v_lshl_add_u32 v2, v2, 23, v17
	v_lshl_or_b32 v2, v4, 21, v2
	v_add_u32_e32 v2, 0x38000000, v2
                                        ; implicit-def: $vgpr4
.LBB2_808:                              ;   in Loop: Header=BB2_601 Depth=2
	s_andn2_saveexec_b64 s[78:79], s[78:79]
; %bb.809:                              ;   in Loop: Header=BB2_601 Depth=2
	v_cmp_lt_i32_e32 vcc, -1, v17
	v_cndmask_b32_e32 v2, v8, v54, vcc
	v_cmp_eq_u32_e32 vcc, 0, v4
	v_cndmask_b32_e32 v2, v55, v2, vcc
; %bb.810:                              ;   in Loop: Header=BB2_601 Depth=2
	s_or_b64 exec, exec, s[78:79]
.LBB2_811:                              ;   in Loop: Header=BB2_601 Depth=2
	s_or_b64 exec, exec, s[76:77]
.LBB2_812:                              ;   in Loop: Header=BB2_601 Depth=2
	s_or_b64 exec, exec, s[74:75]
	v_cmp_lt_u32_e32 vcc, s57, v58
	s_and_saveexec_b64 s[74:75], vcc
	s_cbranch_execz .LBB2_820
; %bb.813:                              ;   in Loop: Header=BB2_601 Depth=2
	v_cmp_ne_u32_e32 vcc, s50, v0
	v_bfrev_b32_e32 v3, 1
	s_and_saveexec_b64 s[76:77], vcc
	s_cbranch_execz .LBB2_819
; %bb.814:                              ;   in Loop: Header=BB2_601 Depth=2
	v_and_b32_e32 v3, 0x7c000000, v58
	v_bfe_u32 v4, v58, 24, 2
	v_cmp_ne_u32_e32 vcc, s54, v3
                                        ; implicit-def: $vgpr3
	s_and_saveexec_b64 s[78:79], vcc
	s_xor_b64 s[78:79], exec, s[78:79]
	s_cbranch_execz .LBB2_816
; %bb.815:                              ;   in Loop: Header=BB2_601 Depth=2
	v_ffbh_u32_e32 v17, v4
	v_min_u32_e32 v27, 32, v17
	v_subrev_u32_e32 v17, 29, v27
	v_lshlrev_b64 v[17:18], v17, v[0:1]
	v_bfe_u32 v3, v58, 26, 5
	v_sub_u32_e32 v0, 30, v27
	v_and_b32_e32 v17, 3, v17
	v_cmp_eq_u32_e32 vcc, 0, v3
	v_cndmask_b32_e32 v0, v3, v0, vcc
	v_cndmask_b32_e32 v3, v4, v17, vcc
	v_and_b32_e32 v4, 0x80000000, v58
	v_lshl_add_u32 v0, v0, 23, v4
	v_lshl_or_b32 v0, v3, 21, v0
	v_add_u32_e32 v3, 0x38000000, v0
                                        ; implicit-def: $vgpr4
.LBB2_816:                              ;   in Loop: Header=BB2_601 Depth=2
	s_andn2_saveexec_b64 s[78:79], s[78:79]
; %bb.817:                              ;   in Loop: Header=BB2_601 Depth=2
	v_cmp_lt_i32_e32 vcc, -1, v58
	v_cndmask_b32_e32 v0, v8, v54, vcc
	v_cmp_eq_u32_e32 vcc, 0, v4
	v_cndmask_b32_e32 v3, v55, v0, vcc
; %bb.818:                              ;   in Loop: Header=BB2_601 Depth=2
	s_or_b64 exec, exec, s[78:79]
.LBB2_819:                              ;   in Loop: Header=BB2_601 Depth=2
	s_or_b64 exec, exec, s[76:77]
.LBB2_820:                              ;   in Loop: Header=BB2_601 Depth=2
	s_or_b64 exec, exec, s[74:75]
	v_max_f32_e32 v0, v3, v3
	v_max_f32_e32 v2, v2, v2
	v_min_f32_e32 v2, v2, v0
.LBB2_821:                              ;   in Loop: Header=BB2_601 Depth=2
	s_or_b64 exec, exec, s[18:19]
	v_and_b32_e32 v3, 0x7f800000, v2
	v_mov_b32_e32 v4, v59
	v_cmp_ne_u64_e32 vcc, s[58:59], v[3:4]
	v_and_b32_e32 v58, 0x7fffff, v2
                                        ; implicit-def: $vgpr36
	s_and_saveexec_b64 s[18:19], vcc
	s_xor_b64 s[74:75], exec, s[18:19]
	s_cbranch_execz .LBB2_835
; %bb.822:                              ;   in Loop: Header=BB2_601 Depth=2
	v_and_b32_e32 v3, 0x7fffffff, v2
	v_mov_b32_e32 v4, v59
	v_cmp_gt_u64_e32 vcc, s[60:61], v[3:4]
	v_and_b32_sdwa v0, v2, s50 dst_sel:DWORD dst_unused:UNUSED_PAD src0_sel:BYTE_3 src1_sel:DWORD
                                        ; implicit-def: $vgpr36
	s_and_saveexec_b64 s[18:19], vcc
	s_xor_b64 s[76:77], exec, s[18:19]
	s_cbranch_execz .LBB2_832
; %bb.823:                              ;   in Loop: Header=BB2_601 Depth=2
	v_mov_b32_e32 v36, 0
	v_cmp_ne_u32_e32 vcc, 0, v2
	s_and_saveexec_b64 s[78:79], vcc
	s_cbranch_execz .LBB2_831
; %bb.824:                              ;   in Loop: Header=BB2_601 Depth=2
	v_bfe_u32 v17, v2, 23, 8
	v_cmp_gt_u32_e64 s[18:19], s51, v17
	v_sub_u32_e32 v2, 0x71, v17
	v_cmp_eq_u32_e32 vcc, 0, v17
	v_cndmask_b32_e64 v2, 0, v2, s[18:19]
	v_cndmask_b32_e32 v18, v2, v25, vcc
	v_or_b32_e32 v3, 0x800000, v58
	v_add_u32_e32 v2, 21, v18
	v_cndmask_b32_e32 v58, v3, v58, vcc
	v_lshlrev_b64 v[2:3], v2, -1
	v_add_u32_e32 v4, 20, v18
	v_lshlrev_b64 v[27:28], v4, 1
	v_bfi_b32 v3, v3, 0, 0
	v_bfi_b32 v2, v2, 0, v58
	v_cmp_eq_u64_e64 s[18:19], v[2:3], v[27:28]
	v_lshrrev_b64 v[2:3], v18, v[58:59]
	v_mov_b32_e32 v4, v3
	v_mov_b32_e32 v3, v2
	s_and_saveexec_b64 s[88:89], s[18:19]
; %bb.825:                              ;   in Loop: Header=BB2_601 Depth=2
	v_bfe_u32 v3, v2, 21, 1
	v_add_co_u32_e64 v3, s[18:19], v2, v3
	v_add_co_u32_e64 v3, s[18:19], -1, v3
; %bb.826:                              ;   in Loop: Header=BB2_601 Depth=2
	s_or_b64 exec, exec, s[88:89]
	v_add_u32_e32 v4, 0xffffff81, v17
	v_cndmask_b32_e32 v4, v4, v48, vcc
	v_lshrrev_b32_e32 v17, 23, v2
	v_add3_u32 v18, v18, v4, v17
	v_add_u32_e32 v17, 14, v18
	v_and_b32_e32 v3, 0x1fffff, v3
	v_add_u32_e32 v58, v3, v2
	v_cmp_ne_u32_e32 vcc, 0, v17
                                        ; implicit-def: $vgpr2_vgpr3
                                        ; implicit-def: $vgpr4
	s_and_saveexec_b64 s[18:19], vcc
	s_xor_b64 s[18:19], exec, s[18:19]
; %bb.827:                              ;   in Loop: Header=BB2_601 Depth=2
	v_cmp_lt_u64_e32 vcc, s[62:63], v[58:59]
	v_add_u32_e32 v2, 15, v18
	v_cndmask_b32_e32 v4, v17, v2, vcc
	v_cndmask_b32_e64 v2, 0, 1, vcc
	v_lshrrev_b64 v[2:3], v2, v[58:59]
; %bb.828:                              ;   in Loop: Header=BB2_601 Depth=2
	s_andn2_saveexec_b64 s[18:19], s[18:19]
; %bb.829:                              ;   in Loop: Header=BB2_601 Depth=2
	v_mov_b32_e32 v2, v58
	v_bfe_u32 v4, v58, 23, 1
	v_mov_b32_e32 v3, v59
; %bb.830:                              ;   in Loop: Header=BB2_601 Depth=2
	s_or_b64 exec, exec, s[18:19]
	v_lshrrev_b64 v[2:3], 21, v[2:3]
	v_cmp_gt_i32_e32 vcc, 32, v4
	v_cndmask_b32_e32 v3, 0, v3, vcc
	v_cndmask_b32_e32 v2, 3, v2, vcc
	v_cmp_eq_u64_e64 s[18:19], 0, v[2:3]
	v_min_i32_e32 v3, 31, v4
	v_lshlrev_b32_e32 v3, 2, v3
	v_cmp_eq_u32_e32 vcc, 0, v4
	v_and_b32_e32 v3, 0xfc, v3
	v_and_or_b32 v2, v2, 3, v3
	s_and_b64 s[18:19], vcc, s[18:19]
	v_cndmask_b32_e64 v2, v2, 0, s[18:19]
	v_or_b32_e32 v36, v2, v0
.LBB2_831:                              ;   in Loop: Header=BB2_601 Depth=2
	s_or_b64 exec, exec, s[78:79]
                                        ; implicit-def: $vgpr0
.LBB2_832:                              ;   in Loop: Header=BB2_601 Depth=2
	s_andn2_saveexec_b64 s[18:19], s[76:77]
; %bb.833:                              ;   in Loop: Header=BB2_601 Depth=2
	v_or_b32_e32 v36, 0x7b, v0
; %bb.834:                              ;   in Loop: Header=BB2_601 Depth=2
	s_or_b64 exec, exec, s[18:19]
                                        ; implicit-def: $vgpr2
.LBB2_835:                              ;   in Loop: Header=BB2_601 Depth=2
	s_andn2_saveexec_b64 s[18:19], s[74:75]
	s_cbranch_execz .LBB2_841
; %bb.836:                              ;   in Loop: Header=BB2_601 Depth=2
	v_cmp_ne_u64_e32 vcc, 0, v[58:59]
                                        ; implicit-def: $vgpr36
	s_and_saveexec_b64 s[74:75], vcc
	s_xor_b64 s[74:75], exec, s[74:75]
; %bb.837:                              ;   in Loop: Header=BB2_601 Depth=2
	v_or_b32_sdwa v36, v2, s52 dst_sel:DWORD dst_unused:UNUSED_PAD src0_sel:BYTE_3 src1_sel:DWORD
                                        ; implicit-def: $vgpr2
; %bb.838:                              ;   in Loop: Header=BB2_601 Depth=2
	s_andn2_saveexec_b64 s[74:75], s[74:75]
; %bb.839:                              ;   in Loop: Header=BB2_601 Depth=2
	v_cmp_lt_i32_e32 vcc, -1, v2
	v_cndmask_b32_e32 v36, v49, v31, vcc
; %bb.840:                              ;   in Loop: Header=BB2_601 Depth=2
	s_or_b64 exec, exec, s[74:75]
.LBB2_841:                              ;   in Loop: Header=BB2_601 Depth=2
	s_or_b64 exec, exec, s[18:19]
	v_alignbit_b32 v58, v24, v33, v37
	v_cmp_ne_u16_sdwa s[18:19], v19, v59 src0_sel:BYTE_0 src1_sel:DWORD
                                        ; implicit-def: $vgpr4
	s_and_saveexec_b64 s[74:75], s[14:15]
	s_xor_b64 s[74:75], exec, s[74:75]
	s_cbranch_execz .LBB2_859
; %bb.842:                              ;   in Loop: Header=BB2_601 Depth=2
	v_mov_b32_e32 v2, 0
	v_mov_b32_e32 v0, 0
	s_and_saveexec_b64 s[76:77], s[18:19]
	s_cbranch_execz .LBB2_850
; %bb.843:                              ;   in Loop: Header=BB2_601 Depth=2
	v_cmp_ne_u16_sdwa s[88:89], sext(v19), s48 src0_sel:BYTE_0 src1_sel:DWORD
	v_bfrev_b32_e32 v0, 1
	s_and_saveexec_b64 s[78:79], s[88:89]
	s_cbranch_execz .LBB2_849
; %bb.844:                              ;   in Loop: Header=BB2_601 Depth=2
	v_and_b32_e32 v0, 0x7c, v19
	v_and_b32_e32 v3, 3, v19
	v_cmp_ne_u32_e32 vcc, s49, v0
                                        ; implicit-def: $vgpr0
	s_and_saveexec_b64 s[88:89], vcc
	s_xor_b64 s[88:89], exec, s[88:89]
	s_cbranch_execz .LBB2_846
; %bb.845:                              ;   in Loop: Header=BB2_601 Depth=2
	v_ffbh_u32_e32 v4, v3
	v_min_u32_e32 v4, 32, v4
	v_bfe_u32 v0, v19, 2, 5
	v_subrev_u32_e32 v17, 29, v4
	v_lshlrev_b64 v[17:18], v17, v[19:20]
	v_sub_u32_e32 v4, 30, v4
	v_cmp_eq_u32_e32 vcc, 0, v0
	v_cndmask_b32_e32 v0, v0, v4, vcc
	v_lshlrev_b32_e32 v4, 24, v19
	v_and_b32_e32 v17, 3, v17
	v_and_b32_e32 v4, 0x80000000, v4
	v_cndmask_b32_e32 v3, v3, v17, vcc
	v_lshl_add_u32 v0, v0, 23, v4
	v_lshl_or_b32 v0, v3, 21, v0
	v_add_u32_e32 v0, 0x38000000, v0
                                        ; implicit-def: $vgpr3
.LBB2_846:                              ;   in Loop: Header=BB2_601 Depth=2
	s_andn2_saveexec_b64 s[88:89], s[88:89]
; %bb.847:                              ;   in Loop: Header=BB2_601 Depth=2
	v_cmp_gt_i16_sdwa vcc, sext(v19), v43 src0_sel:BYTE_0 src1_sel:DWORD
	v_cndmask_b32_e32 v0, v8, v54, vcc
	v_cmp_eq_u32_e32 vcc, 0, v3
	v_cndmask_b32_e32 v0, v55, v0, vcc
; %bb.848:                              ;   in Loop: Header=BB2_601 Depth=2
	s_or_b64 exec, exec, s[88:89]
.LBB2_849:                              ;   in Loop: Header=BB2_601 Depth=2
	s_or_b64 exec, exec, s[78:79]
.LBB2_850:                              ;   in Loop: Header=BB2_601 Depth=2
	s_or_b64 exec, exec, s[76:77]
	v_cmp_ne_u16_sdwa s[78:79], sext(v58), v59 src0_sel:BYTE_0 src1_sel:DWORD
	s_and_saveexec_b64 s[76:77], s[78:79]
	s_cbranch_execz .LBB2_858
; %bb.851:                              ;   in Loop: Header=BB2_601 Depth=2
	v_cmp_ne_u16_sdwa s[88:89], sext(v58), s48 src0_sel:BYTE_0 src1_sel:DWORD
	v_bfrev_b32_e32 v2, 1
	s_and_saveexec_b64 s[78:79], s[88:89]
	s_cbranch_execz .LBB2_857
; %bb.852:                              ;   in Loop: Header=BB2_601 Depth=2
	v_and_b32_e32 v2, 0x7c, v58
	v_and_b32_e32 v3, 3, v58
	v_cmp_ne_u32_e32 vcc, s49, v2
                                        ; implicit-def: $vgpr2
	s_and_saveexec_b64 s[88:89], vcc
	s_xor_b64 s[88:89], exec, s[88:89]
	s_cbranch_execz .LBB2_854
; %bb.853:                              ;   in Loop: Header=BB2_601 Depth=2
	v_ffbh_u32_e32 v4, v3
	v_min_u32_e32 v4, 32, v4
	v_bfe_u32 v2, v58, 2, 5
	v_subrev_u32_e32 v17, 29, v4
	v_lshlrev_b64 v[17:18], v17, v[58:59]
	v_sub_u32_e32 v4, 30, v4
	v_cmp_eq_u32_e32 vcc, 0, v2
	v_cndmask_b32_e32 v2, v2, v4, vcc
	v_lshlrev_b32_e32 v4, 24, v58
	v_and_b32_e32 v17, 3, v17
	v_and_b32_e32 v4, 0x80000000, v4
	v_cndmask_b32_e32 v3, v3, v17, vcc
	v_lshl_add_u32 v2, v2, 23, v4
	v_lshl_or_b32 v2, v3, 21, v2
	v_add_u32_e32 v2, 0x38000000, v2
                                        ; implicit-def: $vgpr3
.LBB2_854:                              ;   in Loop: Header=BB2_601 Depth=2
	s_andn2_saveexec_b64 s[88:89], s[88:89]
; %bb.855:                              ;   in Loop: Header=BB2_601 Depth=2
	v_cmp_gt_i16_sdwa vcc, sext(v58), v43 src0_sel:BYTE_0 src1_sel:DWORD
	v_cndmask_b32_e32 v2, v8, v54, vcc
	v_cmp_eq_u32_e32 vcc, 0, v3
	v_cndmask_b32_e32 v2, v55, v2, vcc
; %bb.856:                              ;   in Loop: Header=BB2_601 Depth=2
	s_or_b64 exec, exec, s[88:89]
.LBB2_857:                              ;   in Loop: Header=BB2_601 Depth=2
	s_or_b64 exec, exec, s[78:79]
.LBB2_858:                              ;   in Loop: Header=BB2_601 Depth=2
	s_or_b64 exec, exec, s[76:77]
	v_max_f32_e32 v2, v2, v2
	v_max_f32_e32 v0, v0, v0
	;; [unrolled: 1-line block ×3, first 2 shown]
.LBB2_859:                              ;   in Loop: Header=BB2_601 Depth=2
	s_andn2_saveexec_b64 s[74:75], s[74:75]
	s_cbranch_execz .LBB2_877
; %bb.860:                              ;   in Loop: Header=BB2_601 Depth=2
	v_mov_b32_e32 v2, 0
	v_mov_b32_e32 v0, 0
	s_and_saveexec_b64 s[76:77], s[18:19]
	s_cbranch_execz .LBB2_868
; %bb.861:                              ;   in Loop: Header=BB2_601 Depth=2
	v_cmp_ne_u16_sdwa s[78:79], sext(v19), s48 src0_sel:BYTE_0 src1_sel:DWORD
	v_bfrev_b32_e32 v0, 1
	s_and_saveexec_b64 s[18:19], s[78:79]
	s_cbranch_execz .LBB2_867
; %bb.862:                              ;   in Loop: Header=BB2_601 Depth=2
	v_and_b32_e32 v0, 0x7c, v19
	v_and_b32_e32 v3, 3, v19
	v_cmp_ne_u32_e32 vcc, s49, v0
                                        ; implicit-def: $vgpr0
	s_and_saveexec_b64 s[78:79], vcc
	s_xor_b64 s[78:79], exec, s[78:79]
	s_cbranch_execz .LBB2_864
; %bb.863:                              ;   in Loop: Header=BB2_601 Depth=2
	v_ffbh_u32_e32 v4, v3
	v_min_u32_e32 v4, 32, v4
	v_bfe_u32 v0, v19, 2, 5
	v_subrev_u32_e32 v17, 29, v4
	v_lshlrev_b64 v[17:18], v17, v[19:20]
	v_sub_u32_e32 v4, 30, v4
	v_cmp_eq_u32_e32 vcc, 0, v0
	v_cndmask_b32_e32 v0, v0, v4, vcc
	v_lshlrev_b32_e32 v4, 24, v19
	v_and_b32_e32 v17, 3, v17
	v_and_b32_e32 v4, 0x80000000, v4
	v_cndmask_b32_e32 v3, v3, v17, vcc
	v_lshl_add_u32 v0, v0, 23, v4
	v_lshl_or_b32 v0, v3, 21, v0
	v_add_u32_e32 v0, 0x38000000, v0
                                        ; implicit-def: $vgpr3
.LBB2_864:                              ;   in Loop: Header=BB2_601 Depth=2
	s_andn2_saveexec_b64 s[78:79], s[78:79]
; %bb.865:                              ;   in Loop: Header=BB2_601 Depth=2
	v_cmp_gt_i16_sdwa vcc, sext(v19), v43 src0_sel:BYTE_0 src1_sel:DWORD
	v_cndmask_b32_e32 v0, v8, v54, vcc
	v_cmp_eq_u32_e32 vcc, 0, v3
	v_cndmask_b32_e32 v0, v55, v0, vcc
; %bb.866:                              ;   in Loop: Header=BB2_601 Depth=2
	s_or_b64 exec, exec, s[78:79]
.LBB2_867:                              ;   in Loop: Header=BB2_601 Depth=2
	s_or_b64 exec, exec, s[18:19]
.LBB2_868:                              ;   in Loop: Header=BB2_601 Depth=2
	s_or_b64 exec, exec, s[76:77]
	v_cmp_ne_u16_sdwa s[76:77], sext(v58), v59 src0_sel:BYTE_0 src1_sel:DWORD
	s_and_saveexec_b64 s[18:19], s[76:77]
	s_cbranch_execz .LBB2_876
; %bb.869:                              ;   in Loop: Header=BB2_601 Depth=2
	v_cmp_ne_u16_sdwa s[78:79], sext(v58), s48 src0_sel:BYTE_0 src1_sel:DWORD
	v_bfrev_b32_e32 v2, 1
	s_and_saveexec_b64 s[76:77], s[78:79]
	s_cbranch_execz .LBB2_875
; %bb.870:                              ;   in Loop: Header=BB2_601 Depth=2
	v_and_b32_e32 v2, 0x7c, v58
	v_and_b32_e32 v3, 3, v58
	v_cmp_ne_u32_e32 vcc, s49, v2
                                        ; implicit-def: $vgpr2
	s_and_saveexec_b64 s[78:79], vcc
	s_xor_b64 s[78:79], exec, s[78:79]
	s_cbranch_execz .LBB2_872
; %bb.871:                              ;   in Loop: Header=BB2_601 Depth=2
	v_ffbh_u32_e32 v4, v3
	v_min_u32_e32 v4, 32, v4
	v_bfe_u32 v2, v58, 2, 5
	v_subrev_u32_e32 v17, 29, v4
	v_lshlrev_b64 v[17:18], v17, v[58:59]
	v_sub_u32_e32 v4, 30, v4
	v_cmp_eq_u32_e32 vcc, 0, v2
	v_cndmask_b32_e32 v2, v2, v4, vcc
	v_lshlrev_b32_e32 v4, 24, v58
	v_and_b32_e32 v17, 3, v17
	v_and_b32_e32 v4, 0x80000000, v4
	v_cndmask_b32_e32 v3, v3, v17, vcc
	v_lshl_add_u32 v2, v2, 23, v4
	v_lshl_or_b32 v2, v3, 21, v2
	v_add_u32_e32 v2, 0x38000000, v2
                                        ; implicit-def: $vgpr3
.LBB2_872:                              ;   in Loop: Header=BB2_601 Depth=2
	s_andn2_saveexec_b64 s[78:79], s[78:79]
; %bb.873:                              ;   in Loop: Header=BB2_601 Depth=2
	v_cmp_gt_i16_sdwa vcc, sext(v58), v43 src0_sel:BYTE_0 src1_sel:DWORD
	v_cndmask_b32_e32 v2, v8, v54, vcc
	v_cmp_eq_u32_e32 vcc, 0, v3
	v_cndmask_b32_e32 v2, v55, v2, vcc
; %bb.874:                              ;   in Loop: Header=BB2_601 Depth=2
	s_or_b64 exec, exec, s[78:79]
.LBB2_875:                              ;   in Loop: Header=BB2_601 Depth=2
	s_or_b64 exec, exec, s[76:77]
.LBB2_876:                              ;   in Loop: Header=BB2_601 Depth=2
	s_or_b64 exec, exec, s[18:19]
	v_max_f32_e32 v2, v2, v2
	v_max_f32_e32 v0, v0, v0
	v_min_f32_e32 v4, v0, v2
.LBB2_877:                              ;   in Loop: Header=BB2_601 Depth=2
	s_or_b64 exec, exec, s[74:75]
	v_and_b32_e32 v17, 0x7f800000, v4
	v_mov_b32_e32 v18, v59
	v_cmp_ne_u64_e32 vcc, s[58:59], v[17:18]
	v_and_b32_e32 v2, 0x7fffff, v4
	v_mov_b32_e32 v3, v59
                                        ; implicit-def: $vgpr20
	s_and_saveexec_b64 s[18:19], vcc
	s_xor_b64 s[74:75], exec, s[18:19]
	s_cbranch_execz .LBB2_891
; %bb.878:                              ;   in Loop: Header=BB2_601 Depth=2
	v_and_b32_e32 v17, 0x7fffffff, v4
	v_mov_b32_e32 v18, v59
	v_cmp_gt_u64_e32 vcc, s[60:61], v[17:18]
	v_and_b32_sdwa v0, v4, s50 dst_sel:DWORD dst_unused:UNUSED_PAD src0_sel:BYTE_3 src1_sel:DWORD
                                        ; implicit-def: $vgpr20
	s_and_saveexec_b64 s[18:19], vcc
	s_xor_b64 s[76:77], exec, s[18:19]
	s_cbranch_execz .LBB2_888
; %bb.879:                              ;   in Loop: Header=BB2_601 Depth=2
	v_mov_b32_e32 v20, 0
	v_cmp_ne_u32_e32 vcc, 0, v4
	s_and_saveexec_b64 s[78:79], vcc
	s_cbranch_execz .LBB2_887
; %bb.880:                              ;   in Loop: Header=BB2_601 Depth=2
	v_bfe_u32 v17, v4, 23, 8
	v_cmp_gt_u32_e64 s[18:19], s51, v17
	v_sub_u32_e32 v4, 0x71, v17
	v_cmp_eq_u32_e32 vcc, 0, v17
	v_cndmask_b32_e64 v4, 0, v4, s[18:19]
	v_cndmask_b32_e32 v18, v4, v25, vcc
	v_add_u32_e32 v4, 21, v18
	v_or_b32_e32 v20, 0x800000, v2
	v_lshlrev_b64 v[27:28], v4, -1
	v_cndmask_b32_e32 v2, v20, v2, vcc
	v_add_u32_e32 v4, 20, v18
	v_bfi_b32 v27, v27, 0, v2
	v_lshlrev_b64 v[37:38], v4, 1
	v_lshrrev_b64 v[2:3], v18, v[2:3]
	v_bfi_b32 v28, v28, 0, 0
	v_cmp_eq_u64_e64 s[18:19], v[27:28], v[37:38]
	v_mov_b32_e32 v4, v3
	v_mov_b32_e32 v3, v2
	s_and_saveexec_b64 s[88:89], s[18:19]
; %bb.881:                              ;   in Loop: Header=BB2_601 Depth=2
	v_bfe_u32 v3, v2, 21, 1
	v_add_co_u32_e64 v3, s[18:19], v2, v3
	v_add_co_u32_e64 v3, s[18:19], -1, v3
; %bb.882:                              ;   in Loop: Header=BB2_601 Depth=2
	s_or_b64 exec, exec, s[88:89]
	v_add_u32_e32 v4, 0xffffff81, v17
	v_cndmask_b32_e32 v4, v4, v48, vcc
	v_lshrrev_b32_e32 v17, 23, v2
	v_add3_u32 v18, v18, v4, v17
	v_add_u32_e32 v17, 14, v18
	v_and_b32_e32 v3, 0x1fffff, v3
	v_add_u32_e32 v2, v3, v2
	v_mov_b32_e32 v3, v59
	v_cmp_ne_u32_e32 vcc, 0, v17
                                        ; implicit-def: $vgpr4
	s_and_saveexec_b64 s[18:19], vcc
	s_xor_b64 s[18:19], exec, s[18:19]
; %bb.883:                              ;   in Loop: Header=BB2_601 Depth=2
	v_cmp_lt_u64_e32 vcc, s[62:63], v[2:3]
	v_add_u32_e32 v4, 15, v18
	v_cndmask_b32_e32 v4, v17, v4, vcc
	v_cndmask_b32_e64 v17, 0, 1, vcc
	v_lshrrev_b64 v[2:3], v17, v[2:3]
; %bb.884:                              ;   in Loop: Header=BB2_601 Depth=2
	s_andn2_saveexec_b64 s[18:19], s[18:19]
; %bb.885:                              ;   in Loop: Header=BB2_601 Depth=2
	v_bfe_u32 v4, v2, 23, 1
; %bb.886:                              ;   in Loop: Header=BB2_601 Depth=2
	s_or_b64 exec, exec, s[18:19]
	v_lshrrev_b64 v[2:3], 21, v[2:3]
	v_cmp_gt_i32_e32 vcc, 32, v4
	v_cndmask_b32_e32 v3, 0, v3, vcc
	v_cndmask_b32_e32 v2, 3, v2, vcc
	v_cmp_eq_u64_e64 s[18:19], 0, v[2:3]
	v_min_i32_e32 v3, 31, v4
	v_lshlrev_b32_e32 v3, 2, v3
	v_cmp_eq_u32_e32 vcc, 0, v4
	v_and_b32_e32 v3, 0xfc, v3
	v_and_or_b32 v2, v2, 3, v3
	s_and_b64 s[18:19], vcc, s[18:19]
	v_cndmask_b32_e64 v2, v2, 0, s[18:19]
	v_or_b32_e32 v20, v2, v0
.LBB2_887:                              ;   in Loop: Header=BB2_601 Depth=2
	s_or_b64 exec, exec, s[78:79]
                                        ; implicit-def: $vgpr0
.LBB2_888:                              ;   in Loop: Header=BB2_601 Depth=2
	s_andn2_saveexec_b64 s[18:19], s[76:77]
; %bb.889:                              ;   in Loop: Header=BB2_601 Depth=2
	v_or_b32_e32 v20, 0x7b, v0
; %bb.890:                              ;   in Loop: Header=BB2_601 Depth=2
	s_or_b64 exec, exec, s[18:19]
                                        ; implicit-def: $vgpr4
                                        ; implicit-def: $vgpr2_vgpr3
.LBB2_891:                              ;   in Loop: Header=BB2_601 Depth=2
	s_andn2_saveexec_b64 s[18:19], s[74:75]
	s_cbranch_execz .LBB2_897
; %bb.892:                              ;   in Loop: Header=BB2_601 Depth=2
	v_cmp_ne_u64_e32 vcc, 0, v[2:3]
                                        ; implicit-def: $vgpr20
	s_and_saveexec_b64 s[74:75], vcc
	s_xor_b64 s[74:75], exec, s[74:75]
; %bb.893:                              ;   in Loop: Header=BB2_601 Depth=2
	v_or_b32_sdwa v20, v4, s52 dst_sel:DWORD dst_unused:UNUSED_PAD src0_sel:BYTE_3 src1_sel:DWORD
                                        ; implicit-def: $vgpr4
; %bb.894:                              ;   in Loop: Header=BB2_601 Depth=2
	s_andn2_saveexec_b64 s[74:75], s[74:75]
; %bb.895:                              ;   in Loop: Header=BB2_601 Depth=2
	v_cmp_lt_i32_e32 vcc, -1, v4
	v_cndmask_b32_e32 v20, v49, v31, vcc
; %bb.896:                              ;   in Loop: Header=BB2_601 Depth=2
	s_or_b64 exec, exec, s[74:75]
.LBB2_897:                              ;   in Loop: Header=BB2_601 Depth=2
	s_or_b64 exec, exec, s[18:19]
	v_lshrrev_b16_e32 v2, 8, v19
	v_lshrrev_b16_e32 v17, 8, v58
	v_cmp_ne_u16_e32 vcc, 0, v2
                                        ; implicit-def: $vgpr4
	s_and_saveexec_b64 s[18:19], s[14:15]
	s_xor_b64 s[74:75], exec, s[18:19]
	s_cbranch_execz .LBB2_915
; %bb.898:                              ;   in Loop: Header=BB2_601 Depth=2
	v_mov_b32_e32 v4, 0
	v_mov_b32_e32 v0, 0
	s_and_saveexec_b64 s[76:77], vcc
	s_cbranch_execz .LBB2_906
; %bb.899:                              ;   in Loop: Header=BB2_601 Depth=2
	v_cmp_ne_u16_e64 s[18:19], s50, v2
	v_bfrev_b32_e32 v0, 1
	s_and_saveexec_b64 s[78:79], s[18:19]
	s_cbranch_execz .LBB2_905
; %bb.900:                              ;   in Loop: Header=BB2_601 Depth=2
	v_and_b32_e32 v0, 0x7c, v2
	v_and_b32_e32 v18, 3, v2
	v_cmp_ne_u32_e64 s[18:19], s49, v0
                                        ; implicit-def: $vgpr0
	s_and_saveexec_b64 s[88:89], s[18:19]
	s_xor_b64 s[88:89], exec, s[88:89]
	s_cbranch_execz .LBB2_902
; %bb.901:                              ;   in Loop: Header=BB2_601 Depth=2
	v_ffbh_u32_e32 v24, v18
	v_min_u32_e32 v24, 32, v24
	v_mov_b32_e32 v3, v59
	v_subrev_u32_e32 v27, 29, v24
	v_bfe_u32 v0, v2, 2, 5
	v_lshlrev_b64 v[2:3], v27, v[2:3]
	v_sub_u32_e32 v3, 30, v24
	v_cmp_eq_u32_e64 s[18:19], 0, v0
	v_cndmask_b32_e64 v0, v0, v3, s[18:19]
	v_lshlrev_b32_e32 v3, 16, v19
	v_and_b32_e32 v2, 3, v2
	v_and_b32_e32 v3, 0x80000000, v3
	v_cndmask_b32_e64 v2, v18, v2, s[18:19]
	v_lshl_add_u32 v0, v0, 23, v3
	v_lshl_or_b32 v0, v2, 21, v0
	v_add_u32_e32 v0, 0x38000000, v0
                                        ; implicit-def: $vgpr18
.LBB2_902:                              ;   in Loop: Header=BB2_601 Depth=2
	s_andn2_saveexec_b64 s[88:89], s[88:89]
; %bb.903:                              ;   in Loop: Header=BB2_601 Depth=2
	v_cmp_lt_i16_e64 s[18:19], -1, v19
	v_cndmask_b32_e64 v0, v8, v54, s[18:19]
	v_cmp_eq_u32_e64 s[18:19], 0, v18
	v_cndmask_b32_e64 v0, v55, v0, s[18:19]
; %bb.904:                              ;   in Loop: Header=BB2_601 Depth=2
	s_or_b64 exec, exec, s[88:89]
.LBB2_905:                              ;   in Loop: Header=BB2_601 Depth=2
	s_or_b64 exec, exec, s[78:79]
.LBB2_906:                              ;   in Loop: Header=BB2_601 Depth=2
	s_or_b64 exec, exec, s[76:77]
	v_cmp_ne_u16_e64 s[18:19], 0, v17
	s_and_saveexec_b64 s[76:77], s[18:19]
	s_cbranch_execz .LBB2_914
; %bb.907:                              ;   in Loop: Header=BB2_601 Depth=2
	v_cmp_ne_u16_e64 s[18:19], s50, v17
	v_bfrev_b32_e32 v4, 1
	s_and_saveexec_b64 s[78:79], s[18:19]
	s_cbranch_execz .LBB2_913
; %bb.908:                              ;   in Loop: Header=BB2_601 Depth=2
	v_and_b32_e32 v3, 0x7c, v17
	v_and_b32_e32 v2, 3, v17
	v_cmp_ne_u32_e64 s[18:19], s49, v3
                                        ; implicit-def: $vgpr4
	s_and_saveexec_b64 s[88:89], s[18:19]
	s_xor_b64 s[88:89], exec, s[88:89]
	s_cbranch_execz .LBB2_910
; %bb.909:                              ;   in Loop: Header=BB2_601 Depth=2
	v_ffbh_u32_e32 v3, v2
	v_min_u32_e32 v27, 32, v3
	v_mov_b32_e32 v18, v59
	v_subrev_u32_e32 v3, 29, v27
	v_lshlrev_b64 v[3:4], v3, v[17:18]
	v_bfe_u32 v24, v17, 2, 5
	v_and_b32_e32 v3, 3, v3
	v_cmp_eq_u32_e64 s[18:19], 0, v24
	v_sub_u32_e32 v4, 30, v27
	v_cndmask_b32_e64 v2, v2, v3, s[18:19]
	v_lshlrev_b32_e32 v3, 16, v58
	v_cndmask_b32_e64 v4, v24, v4, s[18:19]
	v_and_b32_e32 v3, 0x80000000, v3
	v_lshl_add_u32 v3, v4, 23, v3
	v_lshl_or_b32 v2, v2, 21, v3
	v_add_u32_e32 v4, 0x38000000, v2
                                        ; implicit-def: $vgpr2
.LBB2_910:                              ;   in Loop: Header=BB2_601 Depth=2
	s_andn2_saveexec_b64 s[88:89], s[88:89]
; %bb.911:                              ;   in Loop: Header=BB2_601 Depth=2
	v_cmp_lt_i16_e64 s[18:19], -1, v58
	v_cndmask_b32_e64 v3, v8, v54, s[18:19]
	v_cmp_eq_u32_e64 s[18:19], 0, v2
	v_cndmask_b32_e64 v4, v55, v3, s[18:19]
; %bb.912:                              ;   in Loop: Header=BB2_601 Depth=2
	s_or_b64 exec, exec, s[88:89]
.LBB2_913:                              ;   in Loop: Header=BB2_601 Depth=2
	s_or_b64 exec, exec, s[78:79]
.LBB2_914:                              ;   in Loop: Header=BB2_601 Depth=2
	s_or_b64 exec, exec, s[76:77]
	v_max_f32_e32 v2, v4, v4
	v_max_f32_e32 v0, v0, v0
	;; [unrolled: 1-line block ×3, first 2 shown]
                                        ; implicit-def: $vgpr17
                                        ; implicit-def: $vgpr2
.LBB2_915:                              ;   in Loop: Header=BB2_601 Depth=2
	s_andn2_saveexec_b64 s[18:19], s[74:75]
	s_cbranch_execz .LBB2_933
; %bb.916:                              ;   in Loop: Header=BB2_601 Depth=2
	v_mov_b32_e32 v4, 0
	v_mov_b32_e32 v0, 0
	s_and_saveexec_b64 s[74:75], vcc
	s_cbranch_execz .LBB2_924
; %bb.917:                              ;   in Loop: Header=BB2_601 Depth=2
	v_cmp_ne_u16_e32 vcc, s50, v2
	v_bfrev_b32_e32 v0, 1
	s_and_saveexec_b64 s[76:77], vcc
	s_cbranch_execz .LBB2_923
; %bb.918:                              ;   in Loop: Header=BB2_601 Depth=2
	v_and_b32_e32 v0, 0x7c, v2
	v_and_b32_e32 v18, 3, v2
	v_cmp_ne_u32_e32 vcc, s49, v0
                                        ; implicit-def: $vgpr0
	s_and_saveexec_b64 s[78:79], vcc
	s_xor_b64 s[78:79], exec, s[78:79]
	s_cbranch_execz .LBB2_920
; %bb.919:                              ;   in Loop: Header=BB2_601 Depth=2
	v_ffbh_u32_e32 v24, v18
	v_min_u32_e32 v24, 32, v24
	v_mov_b32_e32 v3, v59
	v_subrev_u32_e32 v27, 29, v24
	v_bfe_u32 v0, v2, 2, 5
	v_lshlrev_b64 v[2:3], v27, v[2:3]
	v_sub_u32_e32 v3, 30, v24
	v_cmp_eq_u32_e32 vcc, 0, v0
	v_cndmask_b32_e32 v0, v0, v3, vcc
	v_lshlrev_b32_e32 v3, 16, v19
	v_and_b32_e32 v2, 3, v2
	v_and_b32_e32 v3, 0x80000000, v3
	v_cndmask_b32_e32 v2, v18, v2, vcc
	v_lshl_add_u32 v0, v0, 23, v3
	v_lshl_or_b32 v0, v2, 21, v0
	v_add_u32_e32 v0, 0x38000000, v0
                                        ; implicit-def: $vgpr18
.LBB2_920:                              ;   in Loop: Header=BB2_601 Depth=2
	s_andn2_saveexec_b64 s[78:79], s[78:79]
; %bb.921:                              ;   in Loop: Header=BB2_601 Depth=2
	v_cmp_lt_i16_e32 vcc, -1, v19
	v_cndmask_b32_e32 v0, v8, v54, vcc
	v_cmp_eq_u32_e32 vcc, 0, v18
	v_cndmask_b32_e32 v0, v55, v0, vcc
; %bb.922:                              ;   in Loop: Header=BB2_601 Depth=2
	s_or_b64 exec, exec, s[78:79]
.LBB2_923:                              ;   in Loop: Header=BB2_601 Depth=2
	s_or_b64 exec, exec, s[76:77]
.LBB2_924:                              ;   in Loop: Header=BB2_601 Depth=2
	s_or_b64 exec, exec, s[74:75]
	v_cmp_ne_u16_e32 vcc, 0, v17
	s_and_saveexec_b64 s[74:75], vcc
	s_cbranch_execz .LBB2_932
; %bb.925:                              ;   in Loop: Header=BB2_601 Depth=2
	v_cmp_ne_u16_e32 vcc, s50, v17
	v_bfrev_b32_e32 v4, 1
	s_and_saveexec_b64 s[76:77], vcc
	s_cbranch_execz .LBB2_931
; %bb.926:                              ;   in Loop: Header=BB2_601 Depth=2
	v_and_b32_e32 v3, 0x7c, v17
	v_and_b32_e32 v2, 3, v17
	v_cmp_ne_u32_e32 vcc, s49, v3
                                        ; implicit-def: $vgpr4
	s_and_saveexec_b64 s[78:79], vcc
	s_xor_b64 s[78:79], exec, s[78:79]
	s_cbranch_execz .LBB2_928
; %bb.927:                              ;   in Loop: Header=BB2_601 Depth=2
	v_ffbh_u32_e32 v3, v2
	v_min_u32_e32 v27, 32, v3
	v_mov_b32_e32 v18, v59
	v_subrev_u32_e32 v3, 29, v27
	v_lshlrev_b64 v[3:4], v3, v[17:18]
	v_bfe_u32 v24, v17, 2, 5
	v_and_b32_e32 v3, 3, v3
	v_cmp_eq_u32_e32 vcc, 0, v24
	v_sub_u32_e32 v4, 30, v27
	v_cndmask_b32_e32 v2, v2, v3, vcc
	v_lshlrev_b32_e32 v3, 16, v58
	v_cndmask_b32_e32 v4, v24, v4, vcc
	v_and_b32_e32 v3, 0x80000000, v3
	v_lshl_add_u32 v3, v4, 23, v3
	v_lshl_or_b32 v2, v2, 21, v3
	v_add_u32_e32 v4, 0x38000000, v2
                                        ; implicit-def: $vgpr2
.LBB2_928:                              ;   in Loop: Header=BB2_601 Depth=2
	s_andn2_saveexec_b64 s[78:79], s[78:79]
; %bb.929:                              ;   in Loop: Header=BB2_601 Depth=2
	v_cmp_lt_i16_e32 vcc, -1, v58
	v_cndmask_b32_e32 v3, v8, v54, vcc
	v_cmp_eq_u32_e32 vcc, 0, v2
	v_cndmask_b32_e32 v4, v55, v3, vcc
; %bb.930:                              ;   in Loop: Header=BB2_601 Depth=2
	s_or_b64 exec, exec, s[78:79]
.LBB2_931:                              ;   in Loop: Header=BB2_601 Depth=2
	s_or_b64 exec, exec, s[76:77]
.LBB2_932:                              ;   in Loop: Header=BB2_601 Depth=2
	s_or_b64 exec, exec, s[74:75]
	v_max_f32_e32 v2, v4, v4
	v_max_f32_e32 v0, v0, v0
	v_min_f32_e32 v4, v0, v2
.LBB2_933:                              ;   in Loop: Header=BB2_601 Depth=2
	s_or_b64 exec, exec, s[18:19]
	v_and_b32_e32 v17, 0x7f800000, v4
	v_mov_b32_e32 v18, v59
	v_cmp_ne_u64_e32 vcc, s[58:59], v[17:18]
	v_and_b32_e32 v2, 0x7fffff, v4
	v_mov_b32_e32 v3, v59
                                        ; implicit-def: $vgpr24
	s_and_saveexec_b64 s[18:19], vcc
	s_xor_b64 s[74:75], exec, s[18:19]
	s_cbranch_execz .LBB2_947
; %bb.934:                              ;   in Loop: Header=BB2_601 Depth=2
	v_and_b32_e32 v17, 0x7fffffff, v4
	v_mov_b32_e32 v18, v59
	v_cmp_gt_u64_e32 vcc, s[60:61], v[17:18]
	v_and_b32_sdwa v0, v4, s50 dst_sel:DWORD dst_unused:UNUSED_PAD src0_sel:BYTE_3 src1_sel:DWORD
                                        ; implicit-def: $vgpr24
	s_and_saveexec_b64 s[18:19], vcc
	s_xor_b64 s[76:77], exec, s[18:19]
	s_cbranch_execz .LBB2_944
; %bb.935:                              ;   in Loop: Header=BB2_601 Depth=2
	v_mov_b32_e32 v24, 0
	v_cmp_ne_u32_e32 vcc, 0, v4
	s_and_saveexec_b64 s[78:79], vcc
	s_cbranch_execz .LBB2_943
; %bb.936:                              ;   in Loop: Header=BB2_601 Depth=2
	v_bfe_u32 v17, v4, 23, 8
	v_cmp_gt_u32_e64 s[18:19], s51, v17
	v_sub_u32_e32 v4, 0x71, v17
	v_cmp_eq_u32_e32 vcc, 0, v17
	v_cndmask_b32_e64 v4, 0, v4, s[18:19]
	v_cndmask_b32_e32 v18, v4, v25, vcc
	v_add_u32_e32 v4, 21, v18
	v_or_b32_e32 v24, 0x800000, v2
	v_lshlrev_b64 v[27:28], v4, -1
	v_cndmask_b32_e32 v2, v24, v2, vcc
	v_add_u32_e32 v4, 20, v18
	v_bfi_b32 v27, v27, 0, v2
	v_lshlrev_b64 v[37:38], v4, 1
	v_lshrrev_b64 v[2:3], v18, v[2:3]
	v_bfi_b32 v28, v28, 0, 0
	v_cmp_eq_u64_e64 s[18:19], v[27:28], v[37:38]
	v_mov_b32_e32 v4, v3
	v_mov_b32_e32 v3, v2
	s_and_saveexec_b64 s[88:89], s[18:19]
; %bb.937:                              ;   in Loop: Header=BB2_601 Depth=2
	v_bfe_u32 v3, v2, 21, 1
	v_add_co_u32_e64 v3, s[18:19], v2, v3
	v_add_co_u32_e64 v3, s[18:19], -1, v3
; %bb.938:                              ;   in Loop: Header=BB2_601 Depth=2
	s_or_b64 exec, exec, s[88:89]
	v_add_u32_e32 v4, 0xffffff81, v17
	v_cndmask_b32_e32 v4, v4, v48, vcc
	v_lshrrev_b32_e32 v17, 23, v2
	v_add3_u32 v18, v18, v4, v17
	v_add_u32_e32 v17, 14, v18
	v_and_b32_e32 v3, 0x1fffff, v3
	v_add_u32_e32 v2, v3, v2
	v_mov_b32_e32 v3, v59
	v_cmp_ne_u32_e32 vcc, 0, v17
                                        ; implicit-def: $vgpr4
	s_and_saveexec_b64 s[18:19], vcc
	s_xor_b64 s[18:19], exec, s[18:19]
; %bb.939:                              ;   in Loop: Header=BB2_601 Depth=2
	v_cmp_lt_u64_e32 vcc, s[62:63], v[2:3]
	v_add_u32_e32 v4, 15, v18
	v_cndmask_b32_e32 v4, v17, v4, vcc
	v_cndmask_b32_e64 v17, 0, 1, vcc
	v_lshrrev_b64 v[2:3], v17, v[2:3]
; %bb.940:                              ;   in Loop: Header=BB2_601 Depth=2
	s_andn2_saveexec_b64 s[18:19], s[18:19]
; %bb.941:                              ;   in Loop: Header=BB2_601 Depth=2
	v_bfe_u32 v4, v2, 23, 1
; %bb.942:                              ;   in Loop: Header=BB2_601 Depth=2
	s_or_b64 exec, exec, s[18:19]
	v_lshrrev_b64 v[2:3], 21, v[2:3]
	v_cmp_gt_i32_e32 vcc, 32, v4
	v_cndmask_b32_e32 v3, 0, v3, vcc
	v_cndmask_b32_e32 v2, 3, v2, vcc
	v_cmp_eq_u64_e64 s[18:19], 0, v[2:3]
	v_min_i32_e32 v3, 31, v4
	v_lshlrev_b32_e32 v3, 2, v3
	v_cmp_eq_u32_e32 vcc, 0, v4
	v_and_b32_e32 v3, 0xfc, v3
	v_and_or_b32 v2, v2, 3, v3
	s_and_b64 s[18:19], vcc, s[18:19]
	v_cndmask_b32_e64 v2, v2, 0, s[18:19]
	v_or_b32_e32 v24, v2, v0
.LBB2_943:                              ;   in Loop: Header=BB2_601 Depth=2
	s_or_b64 exec, exec, s[78:79]
                                        ; implicit-def: $vgpr0
.LBB2_944:                              ;   in Loop: Header=BB2_601 Depth=2
	s_andn2_saveexec_b64 s[18:19], s[76:77]
; %bb.945:                              ;   in Loop: Header=BB2_601 Depth=2
	v_or_b32_e32 v24, 0x7b, v0
; %bb.946:                              ;   in Loop: Header=BB2_601 Depth=2
	s_or_b64 exec, exec, s[18:19]
                                        ; implicit-def: $vgpr4
                                        ; implicit-def: $vgpr2_vgpr3
.LBB2_947:                              ;   in Loop: Header=BB2_601 Depth=2
	s_andn2_saveexec_b64 s[18:19], s[74:75]
	s_cbranch_execz .LBB2_953
; %bb.948:                              ;   in Loop: Header=BB2_601 Depth=2
	v_cmp_ne_u64_e32 vcc, 0, v[2:3]
                                        ; implicit-def: $vgpr24
	s_and_saveexec_b64 s[74:75], vcc
	s_xor_b64 s[74:75], exec, s[74:75]
; %bb.949:                              ;   in Loop: Header=BB2_601 Depth=2
	v_or_b32_sdwa v24, v4, s52 dst_sel:DWORD dst_unused:UNUSED_PAD src0_sel:BYTE_3 src1_sel:DWORD
                                        ; implicit-def: $vgpr4
; %bb.950:                              ;   in Loop: Header=BB2_601 Depth=2
	s_andn2_saveexec_b64 s[74:75], s[74:75]
; %bb.951:                              ;   in Loop: Header=BB2_601 Depth=2
	v_cmp_lt_i32_e32 vcc, -1, v4
	v_cndmask_b32_e32 v24, v49, v31, vcc
; %bb.952:                              ;   in Loop: Header=BB2_601 Depth=2
	s_or_b64 exec, exec, s[74:75]
.LBB2_953:                              ;   in Loop: Header=BB2_601 Depth=2
	s_or_b64 exec, exec, s[18:19]
	v_lshrrev_b32_e32 v17, 16, v19
	v_lshrrev_b32_e32 v0, 16, v58
	v_cmp_ne_u16_sdwa s[18:19], v17, v59 src0_sel:BYTE_0 src1_sel:DWORD
                                        ; implicit-def: $vgpr4
	s_and_saveexec_b64 s[74:75], s[14:15]
	s_xor_b64 s[74:75], exec, s[74:75]
	s_cbranch_execz .LBB2_971
; %bb.954:                              ;   in Loop: Header=BB2_601 Depth=2
	v_mov_b32_e32 v3, 0
	v_mov_b32_e32 v2, 0
	s_and_saveexec_b64 s[76:77], s[18:19]
	s_cbranch_execz .LBB2_962
; %bb.955:                              ;   in Loop: Header=BB2_601 Depth=2
	v_cmp_ne_u16_sdwa s[88:89], v17, s50 src0_sel:BYTE_0 src1_sel:DWORD
	v_bfrev_b32_e32 v2, 1
	s_and_saveexec_b64 s[78:79], s[88:89]
	s_cbranch_execz .LBB2_961
; %bb.956:                              ;   in Loop: Header=BB2_601 Depth=2
	v_and_b32_e32 v2, 0x7c0000, v19
	v_bfe_u32 v4, v19, 16, 2
	v_cmp_ne_u32_e32 vcc, s53, v2
                                        ; implicit-def: $vgpr2
	s_and_saveexec_b64 s[88:89], vcc
	s_xor_b64 s[88:89], exec, s[88:89]
	s_cbranch_execz .LBB2_958
; %bb.957:                              ;   in Loop: Header=BB2_601 Depth=2
	v_ffbh_u32_e32 v18, v4
	v_min_u32_e32 v18, 32, v18
	v_subrev_u32_e32 v27, 29, v18
	v_bfe_u32 v2, v19, 18, 5
	v_lshlrev_b64 v[27:28], v27, v[17:18]
	v_sub_u32_e32 v18, 30, v18
	v_cmp_eq_u32_e32 vcc, 0, v2
	v_lshlrev_b32_e32 v17, 24, v17
	v_and_b32_e32 v27, 3, v27
	v_cndmask_b32_e32 v2, v2, v18, vcc
	v_and_b32_e32 v17, 0x80000000, v17
	v_cndmask_b32_e32 v4, v4, v27, vcc
	v_lshl_add_u32 v2, v2, 23, v17
	v_lshl_or_b32 v2, v4, 21, v2
	v_add_u32_e32 v2, 0x38000000, v2
                                        ; implicit-def: $vgpr4
                                        ; implicit-def: $vgpr17
.LBB2_958:                              ;   in Loop: Header=BB2_601 Depth=2
	s_andn2_saveexec_b64 s[88:89], s[88:89]
; %bb.959:                              ;   in Loop: Header=BB2_601 Depth=2
	v_cmp_gt_i16_sdwa vcc, sext(v17), v43 src0_sel:BYTE_0 src1_sel:DWORD
	v_cndmask_b32_e32 v2, v8, v54, vcc
	v_cmp_eq_u32_e32 vcc, 0, v4
	v_cndmask_b32_e32 v2, v55, v2, vcc
; %bb.960:                              ;   in Loop: Header=BB2_601 Depth=2
	s_or_b64 exec, exec, s[88:89]
.LBB2_961:                              ;   in Loop: Header=BB2_601 Depth=2
	s_or_b64 exec, exec, s[78:79]
.LBB2_962:                              ;   in Loop: Header=BB2_601 Depth=2
	s_or_b64 exec, exec, s[76:77]
	v_and_b32_sdwa v4, v58, s39 dst_sel:DWORD dst_unused:UNUSED_PAD src0_sel:WORD_1 src1_sel:DWORD
	v_cmp_ne_u16_e32 vcc, 0, v4
	s_and_saveexec_b64 s[76:77], vcc
	s_cbranch_execz .LBB2_970
; %bb.963:                              ;   in Loop: Header=BB2_601 Depth=2
	v_cmp_ne_u16_e32 vcc, s50, v4
	v_bfrev_b32_e32 v3, 1
	s_and_saveexec_b64 s[78:79], vcc
	s_cbranch_execz .LBB2_969
; %bb.964:                              ;   in Loop: Header=BB2_601 Depth=2
	v_and_b32_e32 v3, 0x7c0000, v58
	v_bfe_u32 v4, v58, 16, 2
	v_cmp_ne_u32_e32 vcc, s53, v3
                                        ; implicit-def: $vgpr3
	s_and_saveexec_b64 s[88:89], vcc
	s_xor_b64 s[88:89], exec, s[88:89]
	s_cbranch_execz .LBB2_966
; %bb.965:                              ;   in Loop: Header=BB2_601 Depth=2
	v_ffbh_u32_e32 v17, v4
	v_min_u32_e32 v27, 32, v17
	v_subrev_u32_e32 v17, 29, v27
	v_bfe_u32 v3, v58, 18, 5
	v_lshlrev_b64 v[17:18], v17, v[0:1]
	v_sub_u32_e32 v18, 30, v27
	v_cmp_eq_u32_e32 vcc, 0, v3
	v_lshlrev_b32_e32 v0, 24, v0
	v_and_b32_e32 v17, 3, v17
	v_cndmask_b32_e32 v3, v3, v18, vcc
	v_and_b32_e32 v0, 0x80000000, v0
	v_cndmask_b32_e32 v4, v4, v17, vcc
	v_lshl_add_u32 v0, v3, 23, v0
	v_lshl_or_b32 v0, v4, 21, v0
	v_add_u32_e32 v3, 0x38000000, v0
                                        ; implicit-def: $vgpr4
                                        ; implicit-def: $vgpr0
.LBB2_966:                              ;   in Loop: Header=BB2_601 Depth=2
	s_andn2_saveexec_b64 s[88:89], s[88:89]
; %bb.967:                              ;   in Loop: Header=BB2_601 Depth=2
	v_cmp_gt_i16_sdwa vcc, sext(v0), v43 src0_sel:BYTE_0 src1_sel:DWORD
	v_cndmask_b32_e32 v0, v8, v54, vcc
	v_cmp_eq_u32_e32 vcc, 0, v4
	v_cndmask_b32_e32 v3, v55, v0, vcc
; %bb.968:                              ;   in Loop: Header=BB2_601 Depth=2
	s_or_b64 exec, exec, s[88:89]
.LBB2_969:                              ;   in Loop: Header=BB2_601 Depth=2
	s_or_b64 exec, exec, s[78:79]
.LBB2_970:                              ;   in Loop: Header=BB2_601 Depth=2
	s_or_b64 exec, exec, s[76:77]
	v_max_f32_e32 v0, v3, v3
	v_max_f32_e32 v2, v2, v2
	;; [unrolled: 1-line block ×3, first 2 shown]
                                        ; implicit-def: $vgpr17
                                        ; implicit-def: $vgpr0
.LBB2_971:                              ;   in Loop: Header=BB2_601 Depth=2
	s_andn2_saveexec_b64 s[74:75], s[74:75]
	s_cbranch_execz .LBB2_989
; %bb.972:                              ;   in Loop: Header=BB2_601 Depth=2
	v_mov_b32_e32 v3, 0
	v_mov_b32_e32 v2, 0
	s_and_saveexec_b64 s[76:77], s[18:19]
	s_cbranch_execz .LBB2_980
; %bb.973:                              ;   in Loop: Header=BB2_601 Depth=2
	v_cmp_ne_u16_sdwa s[78:79], v17, s50 src0_sel:BYTE_0 src1_sel:DWORD
	v_bfrev_b32_e32 v2, 1
	s_and_saveexec_b64 s[18:19], s[78:79]
	s_cbranch_execz .LBB2_979
; %bb.974:                              ;   in Loop: Header=BB2_601 Depth=2
	v_and_b32_e32 v2, 0x7c0000, v19
	v_bfe_u32 v4, v19, 16, 2
	v_cmp_ne_u32_e32 vcc, s53, v2
                                        ; implicit-def: $vgpr2
	s_and_saveexec_b64 s[78:79], vcc
	s_xor_b64 s[78:79], exec, s[78:79]
	s_cbranch_execz .LBB2_976
; %bb.975:                              ;   in Loop: Header=BB2_601 Depth=2
	v_ffbh_u32_e32 v18, v4
	v_min_u32_e32 v18, 32, v18
	v_subrev_u32_e32 v27, 29, v18
	v_bfe_u32 v2, v19, 18, 5
	v_lshlrev_b64 v[27:28], v27, v[17:18]
	v_sub_u32_e32 v18, 30, v18
	v_cmp_eq_u32_e32 vcc, 0, v2
	v_lshlrev_b32_e32 v17, 24, v17
	v_and_b32_e32 v27, 3, v27
	v_cndmask_b32_e32 v2, v2, v18, vcc
	v_and_b32_e32 v17, 0x80000000, v17
	v_cndmask_b32_e32 v4, v4, v27, vcc
	v_lshl_add_u32 v2, v2, 23, v17
	v_lshl_or_b32 v2, v4, 21, v2
	v_add_u32_e32 v2, 0x38000000, v2
                                        ; implicit-def: $vgpr4
                                        ; implicit-def: $vgpr17
.LBB2_976:                              ;   in Loop: Header=BB2_601 Depth=2
	s_andn2_saveexec_b64 s[78:79], s[78:79]
; %bb.977:                              ;   in Loop: Header=BB2_601 Depth=2
	v_cmp_gt_i16_sdwa vcc, sext(v17), v43 src0_sel:BYTE_0 src1_sel:DWORD
	v_cndmask_b32_e32 v2, v8, v54, vcc
	v_cmp_eq_u32_e32 vcc, 0, v4
	v_cndmask_b32_e32 v2, v55, v2, vcc
; %bb.978:                              ;   in Loop: Header=BB2_601 Depth=2
	s_or_b64 exec, exec, s[78:79]
.LBB2_979:                              ;   in Loop: Header=BB2_601 Depth=2
	s_or_b64 exec, exec, s[18:19]
.LBB2_980:                              ;   in Loop: Header=BB2_601 Depth=2
	s_or_b64 exec, exec, s[76:77]
	v_and_b32_sdwa v4, v58, s39 dst_sel:DWORD dst_unused:UNUSED_PAD src0_sel:WORD_1 src1_sel:DWORD
	v_cmp_ne_u16_e32 vcc, 0, v4
	s_and_saveexec_b64 s[18:19], vcc
	s_cbranch_execz .LBB2_988
; %bb.981:                              ;   in Loop: Header=BB2_601 Depth=2
	v_cmp_ne_u16_e32 vcc, s50, v4
	v_bfrev_b32_e32 v3, 1
	s_and_saveexec_b64 s[76:77], vcc
	s_cbranch_execz .LBB2_987
; %bb.982:                              ;   in Loop: Header=BB2_601 Depth=2
	v_and_b32_e32 v3, 0x7c0000, v58
	v_bfe_u32 v4, v58, 16, 2
	v_cmp_ne_u32_e32 vcc, s53, v3
                                        ; implicit-def: $vgpr3
	s_and_saveexec_b64 s[78:79], vcc
	s_xor_b64 s[78:79], exec, s[78:79]
	s_cbranch_execz .LBB2_984
; %bb.983:                              ;   in Loop: Header=BB2_601 Depth=2
	v_ffbh_u32_e32 v17, v4
	v_min_u32_e32 v27, 32, v17
	v_subrev_u32_e32 v17, 29, v27
	v_bfe_u32 v3, v58, 18, 5
	v_lshlrev_b64 v[17:18], v17, v[0:1]
	v_sub_u32_e32 v18, 30, v27
	v_cmp_eq_u32_e32 vcc, 0, v3
	v_lshlrev_b32_e32 v0, 24, v0
	v_and_b32_e32 v17, 3, v17
	v_cndmask_b32_e32 v3, v3, v18, vcc
	v_and_b32_e32 v0, 0x80000000, v0
	v_cndmask_b32_e32 v4, v4, v17, vcc
	v_lshl_add_u32 v0, v3, 23, v0
	v_lshl_or_b32 v0, v4, 21, v0
	v_add_u32_e32 v3, 0x38000000, v0
                                        ; implicit-def: $vgpr4
                                        ; implicit-def: $vgpr0
.LBB2_984:                              ;   in Loop: Header=BB2_601 Depth=2
	s_andn2_saveexec_b64 s[78:79], s[78:79]
; %bb.985:                              ;   in Loop: Header=BB2_601 Depth=2
	v_cmp_gt_i16_sdwa vcc, sext(v0), v43 src0_sel:BYTE_0 src1_sel:DWORD
	v_cndmask_b32_e32 v0, v8, v54, vcc
	v_cmp_eq_u32_e32 vcc, 0, v4
	v_cndmask_b32_e32 v3, v55, v0, vcc
; %bb.986:                              ;   in Loop: Header=BB2_601 Depth=2
	s_or_b64 exec, exec, s[78:79]
.LBB2_987:                              ;   in Loop: Header=BB2_601 Depth=2
	s_or_b64 exec, exec, s[76:77]
.LBB2_988:                              ;   in Loop: Header=BB2_601 Depth=2
	s_or_b64 exec, exec, s[18:19]
	v_max_f32_e32 v0, v3, v3
	v_max_f32_e32 v2, v2, v2
	v_min_f32_e32 v4, v2, v0
.LBB2_989:                              ;   in Loop: Header=BB2_601 Depth=2
	s_or_b64 exec, exec, s[74:75]
	v_and_b32_e32 v17, 0x7f800000, v4
	v_mov_b32_e32 v18, v59
	v_cmp_ne_u64_e32 vcc, s[58:59], v[17:18]
	v_and_b32_e32 v2, 0x7fffff, v4
	v_mov_b32_e32 v3, v59
                                        ; implicit-def: $vgpr33
	s_and_saveexec_b64 s[18:19], vcc
	s_xor_b64 s[74:75], exec, s[18:19]
	s_cbranch_execz .LBB2_1003
; %bb.990:                              ;   in Loop: Header=BB2_601 Depth=2
	v_and_b32_e32 v17, 0x7fffffff, v4
	v_mov_b32_e32 v18, v59
	v_cmp_gt_u64_e32 vcc, s[60:61], v[17:18]
	v_and_b32_sdwa v0, v4, s50 dst_sel:DWORD dst_unused:UNUSED_PAD src0_sel:BYTE_3 src1_sel:DWORD
                                        ; implicit-def: $vgpr33
	s_and_saveexec_b64 s[18:19], vcc
	s_xor_b64 s[76:77], exec, s[18:19]
	s_cbranch_execz .LBB2_1000
; %bb.991:                              ;   in Loop: Header=BB2_601 Depth=2
	v_mov_b32_e32 v33, 0
	v_cmp_ne_u32_e32 vcc, 0, v4
	s_and_saveexec_b64 s[78:79], vcc
	s_cbranch_execz .LBB2_999
; %bb.992:                              ;   in Loop: Header=BB2_601 Depth=2
	v_bfe_u32 v17, v4, 23, 8
	v_cmp_gt_u32_e64 s[18:19], s51, v17
	v_sub_u32_e32 v4, 0x71, v17
	v_cmp_eq_u32_e32 vcc, 0, v17
	v_cndmask_b32_e64 v4, 0, v4, s[18:19]
	v_cndmask_b32_e32 v18, v4, v25, vcc
	v_or_b32_e32 v27, 0x800000, v2
	v_add_u32_e32 v4, 21, v18
	v_cndmask_b32_e32 v2, v27, v2, vcc
	v_lshlrev_b64 v[27:28], v4, -1
	v_add_u32_e32 v4, 20, v18
	v_bfi_b32 v27, v27, 0, v2
	v_lshlrev_b64 v[37:38], v4, 1
	v_lshrrev_b64 v[2:3], v18, v[2:3]
	v_bfi_b32 v28, v28, 0, 0
	v_cmp_eq_u64_e64 s[18:19], v[27:28], v[37:38]
	v_mov_b32_e32 v4, v3
	v_mov_b32_e32 v3, v2
	s_and_saveexec_b64 s[88:89], s[18:19]
; %bb.993:                              ;   in Loop: Header=BB2_601 Depth=2
	v_bfe_u32 v3, v2, 21, 1
	v_add_co_u32_e64 v3, s[18:19], v2, v3
	v_add_co_u32_e64 v3, s[18:19], -1, v3
; %bb.994:                              ;   in Loop: Header=BB2_601 Depth=2
	s_or_b64 exec, exec, s[88:89]
	v_add_u32_e32 v4, 0xffffff81, v17
	v_cndmask_b32_e32 v4, v4, v48, vcc
	v_lshrrev_b32_e32 v17, 23, v2
	v_add3_u32 v18, v18, v4, v17
	v_add_u32_e32 v17, 14, v18
	v_and_b32_e32 v3, 0x1fffff, v3
	v_add_u32_e32 v2, v3, v2
	v_mov_b32_e32 v3, v59
	v_cmp_ne_u32_e32 vcc, 0, v17
                                        ; implicit-def: $vgpr4
	s_and_saveexec_b64 s[18:19], vcc
	s_xor_b64 s[18:19], exec, s[18:19]
; %bb.995:                              ;   in Loop: Header=BB2_601 Depth=2
	v_cmp_lt_u64_e32 vcc, s[62:63], v[2:3]
	v_add_u32_e32 v4, 15, v18
	v_cndmask_b32_e32 v4, v17, v4, vcc
	v_cndmask_b32_e64 v17, 0, 1, vcc
	v_lshrrev_b64 v[2:3], v17, v[2:3]
; %bb.996:                              ;   in Loop: Header=BB2_601 Depth=2
	s_andn2_saveexec_b64 s[18:19], s[18:19]
; %bb.997:                              ;   in Loop: Header=BB2_601 Depth=2
	v_bfe_u32 v4, v2, 23, 1
; %bb.998:                              ;   in Loop: Header=BB2_601 Depth=2
	s_or_b64 exec, exec, s[18:19]
	v_lshrrev_b64 v[2:3], 21, v[2:3]
	v_cmp_gt_i32_e32 vcc, 32, v4
	v_cndmask_b32_e32 v3, 0, v3, vcc
	v_cndmask_b32_e32 v2, 3, v2, vcc
	v_cmp_eq_u64_e64 s[18:19], 0, v[2:3]
	v_min_i32_e32 v3, 31, v4
	v_lshlrev_b32_e32 v3, 2, v3
	v_cmp_eq_u32_e32 vcc, 0, v4
	v_and_b32_e32 v3, 0xfc, v3
	v_and_or_b32 v2, v2, 3, v3
	s_and_b64 s[18:19], vcc, s[18:19]
	v_cndmask_b32_e64 v2, v2, 0, s[18:19]
	v_or_b32_e32 v33, v2, v0
.LBB2_999:                              ;   in Loop: Header=BB2_601 Depth=2
	s_or_b64 exec, exec, s[78:79]
                                        ; implicit-def: $vgpr0
.LBB2_1000:                             ;   in Loop: Header=BB2_601 Depth=2
	s_andn2_saveexec_b64 s[18:19], s[76:77]
; %bb.1001:                             ;   in Loop: Header=BB2_601 Depth=2
	v_or_b32_e32 v33, 0x7b, v0
; %bb.1002:                             ;   in Loop: Header=BB2_601 Depth=2
	s_or_b64 exec, exec, s[18:19]
                                        ; implicit-def: $vgpr4
                                        ; implicit-def: $vgpr2_vgpr3
.LBB2_1003:                             ;   in Loop: Header=BB2_601 Depth=2
	s_andn2_saveexec_b64 s[18:19], s[74:75]
	s_cbranch_execz .LBB2_1009
; %bb.1004:                             ;   in Loop: Header=BB2_601 Depth=2
	v_cmp_ne_u64_e32 vcc, 0, v[2:3]
                                        ; implicit-def: $vgpr33
	s_and_saveexec_b64 s[74:75], vcc
	s_xor_b64 s[74:75], exec, s[74:75]
; %bb.1005:                             ;   in Loop: Header=BB2_601 Depth=2
	v_or_b32_sdwa v33, v4, s52 dst_sel:DWORD dst_unused:UNUSED_PAD src0_sel:BYTE_3 src1_sel:DWORD
                                        ; implicit-def: $vgpr4
; %bb.1006:                             ;   in Loop: Header=BB2_601 Depth=2
	s_andn2_saveexec_b64 s[74:75], s[74:75]
; %bb.1007:                             ;   in Loop: Header=BB2_601 Depth=2
	v_cmp_lt_i32_e32 vcc, -1, v4
	v_cndmask_b32_e32 v33, v49, v31, vcc
; %bb.1008:                             ;   in Loop: Header=BB2_601 Depth=2
	s_or_b64 exec, exec, s[74:75]
.LBB2_1009:                             ;   in Loop: Header=BB2_601 Depth=2
	s_or_b64 exec, exec, s[18:19]
	v_mov_b32_e32 v18, v59
	v_cmp_lt_u64_e32 vcc, s[56:57], v[18:19]
	v_lshrrev_b32_e32 v17, 24, v19
	v_lshrrev_b32_e32 v0, 24, v58
	v_mov_b32_e32 v27, v59
	v_mov_b32_e32 v28, v58
                                        ; implicit-def: $vgpr2
	s_and_saveexec_b64 s[18:19], s[14:15]
	s_xor_b64 s[74:75], exec, s[18:19]
	s_cbranch_execz .LBB2_1027
; %bb.1010:                             ;   in Loop: Header=BB2_601 Depth=2
	v_mov_b32_e32 v3, 0
	v_mov_b32_e32 v2, 0
	s_and_saveexec_b64 s[76:77], vcc
	s_cbranch_execz .LBB2_1018
; %bb.1011:                             ;   in Loop: Header=BB2_601 Depth=2
	v_cmp_ne_u32_e64 s[18:19], s50, v17
	v_bfrev_b32_e32 v2, 1
	s_and_saveexec_b64 s[78:79], s[18:19]
	s_cbranch_execz .LBB2_1017
; %bb.1012:                             ;   in Loop: Header=BB2_601 Depth=2
	v_and_b32_e32 v2, 0x7c000000, v19
	v_bfe_u32 v4, v19, 24, 2
	v_cmp_ne_u32_e64 s[18:19], s54, v2
                                        ; implicit-def: $vgpr2
	s_and_saveexec_b64 s[88:89], s[18:19]
	s_xor_b64 s[88:89], exec, s[88:89]
	s_cbranch_execz .LBB2_1014
; %bb.1013:                             ;   in Loop: Header=BB2_601 Depth=2
	v_ffbh_u32_e32 v18, v4
	v_min_u32_e32 v37, 32, v18
	v_subrev_u32_e32 v18, 29, v37
	v_lshlrev_b64 v[17:18], v18, v[17:18]
	v_bfe_u32 v2, v19, 26, 5
	v_sub_u32_e32 v18, 30, v37
	v_and_b32_e32 v17, 3, v17
	v_cmp_eq_u32_e64 s[18:19], 0, v2
	v_cndmask_b32_e64 v2, v2, v18, s[18:19]
	v_cndmask_b32_e64 v4, v4, v17, s[18:19]
	v_and_b32_e32 v17, 0x80000000, v19
	v_lshl_add_u32 v2, v2, 23, v17
	v_lshl_or_b32 v2, v4, 21, v2
	v_add_u32_e32 v2, 0x38000000, v2
                                        ; implicit-def: $vgpr4
                                        ; implicit-def: $vgpr18_vgpr19
.LBB2_1014:                             ;   in Loop: Header=BB2_601 Depth=2
	s_andn2_saveexec_b64 s[88:89], s[88:89]
; %bb.1015:                             ;   in Loop: Header=BB2_601 Depth=2
	v_cmp_lt_i64_e64 s[18:19], -1, v[18:19]
	v_cndmask_b32_e64 v2, v8, v54, s[18:19]
	v_cmp_eq_u32_e64 s[18:19], 0, v4
	v_cndmask_b32_e64 v2, v55, v2, s[18:19]
; %bb.1016:                             ;   in Loop: Header=BB2_601 Depth=2
	s_or_b64 exec, exec, s[88:89]
.LBB2_1017:                             ;   in Loop: Header=BB2_601 Depth=2
	s_or_b64 exec, exec, s[78:79]
.LBB2_1018:                             ;   in Loop: Header=BB2_601 Depth=2
	s_or_b64 exec, exec, s[76:77]
	v_cmp_lt_u32_e64 s[18:19], s57, v58
	s_and_saveexec_b64 s[76:77], s[18:19]
	s_cbranch_execz .LBB2_1026
; %bb.1019:                             ;   in Loop: Header=BB2_601 Depth=2
	v_cmp_ne_u32_e64 s[18:19], s50, v0
	v_bfrev_b32_e32 v3, 1
	s_and_saveexec_b64 s[78:79], s[18:19]
	s_cbranch_execz .LBB2_1025
; %bb.1020:                             ;   in Loop: Header=BB2_601 Depth=2
	v_and_b32_e32 v3, 0x7c000000, v58
	v_bfe_u32 v4, v58, 24, 2
	v_cmp_ne_u32_e64 s[18:19], s54, v3
                                        ; implicit-def: $vgpr3
	s_and_saveexec_b64 s[88:89], s[18:19]
	s_xor_b64 s[88:89], exec, s[88:89]
	s_cbranch_execz .LBB2_1022
; %bb.1021:                             ;   in Loop: Header=BB2_601 Depth=2
	v_ffbh_u32_e32 v17, v4
	v_min_u32_e32 v19, 32, v17
	v_subrev_u32_e32 v17, 29, v19
	v_lshlrev_b64 v[17:18], v17, v[0:1]
	v_bfe_u32 v3, v58, 26, 5
	v_sub_u32_e32 v0, 30, v19
	v_and_b32_e32 v17, 3, v17
	v_cmp_eq_u32_e64 s[18:19], 0, v3
	v_cndmask_b32_e64 v0, v3, v0, s[18:19]
	v_cndmask_b32_e64 v3, v4, v17, s[18:19]
	v_and_b32_e32 v4, 0x80000000, v58
	v_lshl_add_u32 v0, v0, 23, v4
	v_lshl_or_b32 v0, v3, 21, v0
	v_add_u32_e32 v3, 0x38000000, v0
                                        ; implicit-def: $vgpr4
                                        ; implicit-def: $vgpr27_vgpr28
.LBB2_1022:                             ;   in Loop: Header=BB2_601 Depth=2
	s_andn2_saveexec_b64 s[88:89], s[88:89]
; %bb.1023:                             ;   in Loop: Header=BB2_601 Depth=2
	v_cmp_lt_i64_e64 s[18:19], -1, v[27:28]
	v_cndmask_b32_e64 v0, v8, v54, s[18:19]
	v_cmp_eq_u32_e64 s[18:19], 0, v4
	v_cndmask_b32_e64 v3, v55, v0, s[18:19]
; %bb.1024:                             ;   in Loop: Header=BB2_601 Depth=2
	s_or_b64 exec, exec, s[88:89]
.LBB2_1025:                             ;   in Loop: Header=BB2_601 Depth=2
	s_or_b64 exec, exec, s[78:79]
.LBB2_1026:                             ;   in Loop: Header=BB2_601 Depth=2
	s_or_b64 exec, exec, s[76:77]
	v_max_f32_e32 v0, v3, v3
	v_max_f32_e32 v2, v2, v2
	;; [unrolled: 1-line block ×3, first 2 shown]
                                        ; implicit-def: $vgpr0
                                        ; implicit-def: $vgpr17
                                        ; implicit-def: $vgpr27_vgpr28
                                        ; implicit-def: $vgpr18_vgpr19
.LBB2_1027:                             ;   in Loop: Header=BB2_601 Depth=2
	s_andn2_saveexec_b64 s[18:19], s[74:75]
	s_cbranch_execz .LBB2_1045
; %bb.1028:                             ;   in Loop: Header=BB2_601 Depth=2
	v_mov_b32_e32 v3, 0
	v_mov_b32_e32 v2, 0
	s_and_saveexec_b64 s[74:75], vcc
	s_cbranch_execz .LBB2_1036
; %bb.1029:                             ;   in Loop: Header=BB2_601 Depth=2
	v_cmp_ne_u32_e32 vcc, s50, v17
	v_bfrev_b32_e32 v2, 1
	s_and_saveexec_b64 s[76:77], vcc
	s_cbranch_execz .LBB2_1035
; %bb.1030:                             ;   in Loop: Header=BB2_601 Depth=2
	v_and_b32_e32 v2, 0x7c000000, v19
	v_bfe_u32 v4, v19, 24, 2
	v_cmp_ne_u32_e32 vcc, s54, v2
                                        ; implicit-def: $vgpr2
	s_and_saveexec_b64 s[78:79], vcc
	s_xor_b64 s[78:79], exec, s[78:79]
	s_cbranch_execz .LBB2_1032
; %bb.1031:                             ;   in Loop: Header=BB2_601 Depth=2
	v_ffbh_u32_e32 v18, v4
	v_min_u32_e32 v37, 32, v18
	v_subrev_u32_e32 v18, 29, v37
	v_lshlrev_b64 v[17:18], v18, v[17:18]
	v_bfe_u32 v2, v19, 26, 5
	v_sub_u32_e32 v18, 30, v37
	v_and_b32_e32 v17, 3, v17
	v_cmp_eq_u32_e32 vcc, 0, v2
	v_cndmask_b32_e32 v2, v2, v18, vcc
	v_cndmask_b32_e32 v4, v4, v17, vcc
	v_and_b32_e32 v17, 0x80000000, v19
	v_lshl_add_u32 v2, v2, 23, v17
	v_lshl_or_b32 v2, v4, 21, v2
	v_add_u32_e32 v2, 0x38000000, v2
                                        ; implicit-def: $vgpr4
                                        ; implicit-def: $vgpr18_vgpr19
.LBB2_1032:                             ;   in Loop: Header=BB2_601 Depth=2
	s_andn2_saveexec_b64 s[78:79], s[78:79]
; %bb.1033:                             ;   in Loop: Header=BB2_601 Depth=2
	v_cmp_lt_i64_e32 vcc, -1, v[18:19]
	v_cndmask_b32_e32 v2, v8, v54, vcc
	v_cmp_eq_u32_e32 vcc, 0, v4
	v_cndmask_b32_e32 v2, v55, v2, vcc
; %bb.1034:                             ;   in Loop: Header=BB2_601 Depth=2
	s_or_b64 exec, exec, s[78:79]
.LBB2_1035:                             ;   in Loop: Header=BB2_601 Depth=2
	s_or_b64 exec, exec, s[76:77]
.LBB2_1036:                             ;   in Loop: Header=BB2_601 Depth=2
	s_or_b64 exec, exec, s[74:75]
	v_cmp_lt_u32_e32 vcc, s57, v58
	s_and_saveexec_b64 s[74:75], vcc
	s_cbranch_execz .LBB2_1044
; %bb.1037:                             ;   in Loop: Header=BB2_601 Depth=2
	v_cmp_ne_u32_e32 vcc, s50, v0
	v_bfrev_b32_e32 v3, 1
	s_and_saveexec_b64 s[76:77], vcc
	s_cbranch_execz .LBB2_1043
; %bb.1038:                             ;   in Loop: Header=BB2_601 Depth=2
	v_and_b32_e32 v3, 0x7c000000, v58
	v_bfe_u32 v4, v58, 24, 2
	v_cmp_ne_u32_e32 vcc, s54, v3
                                        ; implicit-def: $vgpr3
	s_and_saveexec_b64 s[78:79], vcc
	s_xor_b64 s[78:79], exec, s[78:79]
	s_cbranch_execz .LBB2_1040
; %bb.1039:                             ;   in Loop: Header=BB2_601 Depth=2
	v_ffbh_u32_e32 v17, v4
	v_min_u32_e32 v19, 32, v17
	v_subrev_u32_e32 v17, 29, v19
	v_lshlrev_b64 v[17:18], v17, v[0:1]
	v_bfe_u32 v3, v58, 26, 5
	v_sub_u32_e32 v0, 30, v19
	v_and_b32_e32 v17, 3, v17
	v_cmp_eq_u32_e32 vcc, 0, v3
	v_cndmask_b32_e32 v0, v3, v0, vcc
	v_cndmask_b32_e32 v3, v4, v17, vcc
	v_and_b32_e32 v4, 0x80000000, v58
	v_lshl_add_u32 v0, v0, 23, v4
	v_lshl_or_b32 v0, v3, 21, v0
	v_add_u32_e32 v3, 0x38000000, v0
                                        ; implicit-def: $vgpr4
                                        ; implicit-def: $vgpr27_vgpr28
.LBB2_1040:                             ;   in Loop: Header=BB2_601 Depth=2
	s_andn2_saveexec_b64 s[78:79], s[78:79]
; %bb.1041:                             ;   in Loop: Header=BB2_601 Depth=2
	v_cmp_lt_i64_e32 vcc, -1, v[27:28]
	v_cndmask_b32_e32 v0, v8, v54, vcc
	v_cmp_eq_u32_e32 vcc, 0, v4
	v_cndmask_b32_e32 v3, v55, v0, vcc
; %bb.1042:                             ;   in Loop: Header=BB2_601 Depth=2
	s_or_b64 exec, exec, s[78:79]
.LBB2_1043:                             ;   in Loop: Header=BB2_601 Depth=2
	s_or_b64 exec, exec, s[76:77]
.LBB2_1044:                             ;   in Loop: Header=BB2_601 Depth=2
	s_or_b64 exec, exec, s[74:75]
	v_max_f32_e32 v0, v3, v3
	v_max_f32_e32 v2, v2, v2
	v_min_f32_e32 v2, v2, v0
.LBB2_1045:                             ;   in Loop: Header=BB2_601 Depth=2
	s_or_b64 exec, exec, s[18:19]
	v_and_b32_e32 v3, 0x7f800000, v2
	v_mov_b32_e32 v4, v59
	v_cmp_ne_u64_e32 vcc, s[58:59], v[3:4]
	v_and_b32_e32 v58, 0x7fffff, v2
                                        ; implicit-def: $vgpr3
	s_and_saveexec_b64 s[18:19], vcc
	s_xor_b64 s[74:75], exec, s[18:19]
	s_cbranch_execz .LBB2_1059
; %bb.1046:                             ;   in Loop: Header=BB2_601 Depth=2
	v_and_b32_e32 v3, 0x7fffffff, v2
	v_mov_b32_e32 v4, v59
	v_cmp_gt_u64_e32 vcc, s[60:61], v[3:4]
	v_and_b32_sdwa v0, v2, s50 dst_sel:DWORD dst_unused:UNUSED_PAD src0_sel:BYTE_3 src1_sel:DWORD
                                        ; implicit-def: $vgpr3
	s_and_saveexec_b64 s[18:19], vcc
	s_xor_b64 s[76:77], exec, s[18:19]
	s_cbranch_execz .LBB2_1056
; %bb.1047:                             ;   in Loop: Header=BB2_601 Depth=2
	v_mov_b32_e32 v3, 0
	v_cmp_ne_u32_e32 vcc, 0, v2
	s_and_saveexec_b64 s[78:79], vcc
	s_cbranch_execz .LBB2_1055
; %bb.1048:                             ;   in Loop: Header=BB2_601 Depth=2
	v_bfe_u32 v17, v2, 23, 8
	v_cmp_gt_u32_e64 s[18:19], s51, v17
	v_sub_u32_e32 v2, 0x71, v17
	v_cmp_eq_u32_e32 vcc, 0, v17
	v_cndmask_b32_e64 v2, 0, v2, s[18:19]
	v_cndmask_b32_e32 v18, v2, v25, vcc
	v_or_b32_e32 v3, 0x800000, v58
	v_add_u32_e32 v2, 21, v18
	v_cndmask_b32_e32 v58, v3, v58, vcc
	v_lshlrev_b64 v[2:3], v2, -1
	v_add_u32_e32 v4, 20, v18
	v_lshlrev_b64 v[27:28], v4, 1
	v_bfi_b32 v3, v3, 0, 0
	v_bfi_b32 v2, v2, 0, v58
	v_cmp_eq_u64_e64 s[18:19], v[2:3], v[27:28]
	v_lshrrev_b64 v[2:3], v18, v[58:59]
	v_mov_b32_e32 v4, v3
	v_mov_b32_e32 v3, v2
	s_and_saveexec_b64 s[88:89], s[18:19]
; %bb.1049:                             ;   in Loop: Header=BB2_601 Depth=2
	v_bfe_u32 v3, v2, 21, 1
	v_add_co_u32_e64 v3, s[18:19], v2, v3
	v_add_co_u32_e64 v3, s[18:19], -1, v3
; %bb.1050:                             ;   in Loop: Header=BB2_601 Depth=2
	s_or_b64 exec, exec, s[88:89]
	v_add_u32_e32 v4, 0xffffff81, v17
	v_cndmask_b32_e32 v4, v4, v48, vcc
	v_lshrrev_b32_e32 v17, 23, v2
	v_add3_u32 v18, v18, v4, v17
	v_add_u32_e32 v17, 14, v18
	v_and_b32_e32 v3, 0x1fffff, v3
	v_add_u32_e32 v58, v3, v2
	v_cmp_ne_u32_e32 vcc, 0, v17
                                        ; implicit-def: $vgpr2_vgpr3
                                        ; implicit-def: $vgpr4
	s_and_saveexec_b64 s[18:19], vcc
	s_xor_b64 s[18:19], exec, s[18:19]
; %bb.1051:                             ;   in Loop: Header=BB2_601 Depth=2
	v_cmp_lt_u64_e32 vcc, s[62:63], v[58:59]
	v_add_u32_e32 v2, 15, v18
	v_cndmask_b32_e32 v4, v17, v2, vcc
	v_cndmask_b32_e64 v2, 0, 1, vcc
	v_lshrrev_b64 v[2:3], v2, v[58:59]
; %bb.1052:                             ;   in Loop: Header=BB2_601 Depth=2
	s_andn2_saveexec_b64 s[18:19], s[18:19]
; %bb.1053:                             ;   in Loop: Header=BB2_601 Depth=2
	v_mov_b32_e32 v2, v58
	v_bfe_u32 v4, v58, 23, 1
	v_mov_b32_e32 v3, v59
; %bb.1054:                             ;   in Loop: Header=BB2_601 Depth=2
	s_or_b64 exec, exec, s[18:19]
	v_lshrrev_b64 v[2:3], 21, v[2:3]
	v_cmp_gt_i32_e32 vcc, 32, v4
	v_cndmask_b32_e32 v3, 0, v3, vcc
	v_cndmask_b32_e32 v2, 3, v2, vcc
	v_cmp_eq_u64_e64 s[18:19], 0, v[2:3]
	v_min_i32_e32 v3, 31, v4
	v_lshlrev_b32_e32 v3, 2, v3
	v_cmp_eq_u32_e32 vcc, 0, v4
	v_and_b32_e32 v3, 0xfc, v3
	v_and_or_b32 v2, v2, 3, v3
	s_and_b64 s[18:19], vcc, s[18:19]
	v_cndmask_b32_e64 v2, v2, 0, s[18:19]
	v_or_b32_e32 v3, v2, v0
.LBB2_1055:                             ;   in Loop: Header=BB2_601 Depth=2
	s_or_b64 exec, exec, s[78:79]
                                        ; implicit-def: $vgpr0
.LBB2_1056:                             ;   in Loop: Header=BB2_601 Depth=2
	s_andn2_saveexec_b64 s[18:19], s[76:77]
; %bb.1057:                             ;   in Loop: Header=BB2_601 Depth=2
	v_or_b32_e32 v3, 0x7b, v0
; %bb.1058:                             ;   in Loop: Header=BB2_601 Depth=2
	s_or_b64 exec, exec, s[18:19]
                                        ; implicit-def: $vgpr2
.LBB2_1059:                             ;   in Loop: Header=BB2_601 Depth=2
	s_andn2_saveexec_b64 s[18:19], s[74:75]
	s_cbranch_execz .LBB2_1065
; %bb.1060:                             ;   in Loop: Header=BB2_601 Depth=2
	v_cmp_ne_u64_e32 vcc, 0, v[58:59]
                                        ; implicit-def: $vgpr3
	s_and_saveexec_b64 s[74:75], vcc
	s_xor_b64 s[74:75], exec, s[74:75]
; %bb.1061:                             ;   in Loop: Header=BB2_601 Depth=2
	v_or_b32_sdwa v3, v2, s52 dst_sel:DWORD dst_unused:UNUSED_PAD src0_sel:BYTE_3 src1_sel:DWORD
                                        ; implicit-def: $vgpr2
; %bb.1062:                             ;   in Loop: Header=BB2_601 Depth=2
	s_andn2_saveexec_b64 s[74:75], s[74:75]
; %bb.1063:                             ;   in Loop: Header=BB2_601 Depth=2
	v_cmp_lt_i32_e32 vcc, -1, v2
	v_cndmask_b32_e32 v3, v49, v31, vcc
; %bb.1064:                             ;   in Loop: Header=BB2_601 Depth=2
	s_or_b64 exec, exec, s[74:75]
.LBB2_1065:                             ;   in Loop: Header=BB2_601 Depth=2
	s_or_b64 exec, exec, s[18:19]
	v_lshlrev_b32_e32 v0, 16, v23
	v_lshlrev_b32_e32 v2, 24, v36
	v_lshl_or_b32 v0, v32, 8, v0
	v_or3_b32 v17, v0, v2, v10
	v_lshlrev_b32_e32 v2, 16, v33
	v_lshlrev_b32_e32 v0, 24, v3
	v_lshl_or_b32 v2, v24, 8, v2
	v_cmp_lt_u32_e32 vcc, 7, v42
	v_or3_b32 v18, v2, v0, v20
	s_cmp_lg_u64 vcc, exec
	s_mov_b64 s[18:19], -1
	s_cbranch_scc0 .LBB2_1075
; %bb.1066:                             ;   in Loop: Header=BB2_601 Depth=2
	v_cmp_ne_u32_e64 s[18:19], 1, v42
	flat_store_byte v[46:47], v10
	s_and_saveexec_b64 s[74:75], s[18:19]
	s_cbranch_execnz .LBB2_1077
; %bb.1067:                             ;   in Loop: Header=BB2_601 Depth=2
	s_or_b64 exec, exec, s[74:75]
	v_cmp_lt_u32_e64 s[18:19], 2, v42
	s_and_saveexec_b64 s[74:75], s[18:19]
	s_cbranch_execnz .LBB2_1078
.LBB2_1068:                             ;   in Loop: Header=BB2_601 Depth=2
	s_or_b64 exec, exec, s[74:75]
	v_cmp_lt_u32_e64 s[18:19], 3, v42
	s_and_saveexec_b64 s[74:75], s[18:19]
	s_cbranch_execnz .LBB2_1079
.LBB2_1069:                             ;   in Loop: Header=BB2_601 Depth=2
	s_or_b64 exec, exec, s[74:75]
	v_cmp_lt_u32_e64 s[18:19], 4, v42
	s_and_saveexec_b64 s[74:75], s[18:19]
	s_cbranch_execnz .LBB2_1080
.LBB2_1070:                             ;   in Loop: Header=BB2_601 Depth=2
	s_or_b64 exec, exec, s[74:75]
	v_cmp_lt_u32_e64 s[18:19], 5, v42
	s_and_saveexec_b64 s[74:75], s[18:19]
	s_cbranch_execnz .LBB2_1081
.LBB2_1071:                             ;   in Loop: Header=BB2_601 Depth=2
	s_or_b64 exec, exec, s[74:75]
	v_cmp_lt_u32_e64 s[18:19], 6, v42
	s_and_saveexec_b64 s[74:75], s[18:19]
	s_cbranch_execnz .LBB2_1082
.LBB2_1072:                             ;   in Loop: Header=BB2_601 Depth=2
	s_or_b64 exec, exec, s[74:75]
	s_and_saveexec_b64 s[18:19], vcc
	s_cbranch_execz .LBB2_1074
.LBB2_1073:                             ;   in Loop: Header=BB2_601 Depth=2
	v_lshrrev_b32_e32 v0, 24, v18
	flat_store_byte v[46:47], v0 offset:7
.LBB2_1074:                             ;   in Loop: Header=BB2_601 Depth=2
	s_or_b64 exec, exec, s[18:19]
	s_mov_b64 s[18:19], 0
.LBB2_1075:                             ;   in Loop: Header=BB2_601 Depth=2
	s_and_b64 vcc, exec, s[18:19]
	s_cbranch_vccz .LBB2_600
; %bb.1076:                             ;   in Loop: Header=BB2_601 Depth=2
	global_store_dwordx2 v[46:47], v[17:18], off
	s_branch .LBB2_600
.LBB2_1077:                             ;   in Loop: Header=BB2_601 Depth=2
	v_lshrrev_b32_e32 v0, 8, v17
	flat_store_byte v[46:47], v0 offset:1
	s_or_b64 exec, exec, s[74:75]
	v_cmp_lt_u32_e64 s[18:19], 2, v42
	s_and_saveexec_b64 s[74:75], s[18:19]
	s_cbranch_execz .LBB2_1068
.LBB2_1078:                             ;   in Loop: Header=BB2_601 Depth=2
	flat_store_byte_d16_hi v[46:47], v17 offset:2
	s_or_b64 exec, exec, s[74:75]
	v_cmp_lt_u32_e64 s[18:19], 3, v42
	s_and_saveexec_b64 s[74:75], s[18:19]
	s_cbranch_execz .LBB2_1069
.LBB2_1079:                             ;   in Loop: Header=BB2_601 Depth=2
	v_lshrrev_b32_e32 v0, 24, v17
	flat_store_byte v[46:47], v0 offset:3
	s_or_b64 exec, exec, s[74:75]
	v_cmp_lt_u32_e64 s[18:19], 4, v42
	s_and_saveexec_b64 s[74:75], s[18:19]
	s_cbranch_execz .LBB2_1070
.LBB2_1080:                             ;   in Loop: Header=BB2_601 Depth=2
	flat_store_byte v[46:47], v20 offset:4
	s_or_b64 exec, exec, s[74:75]
	v_cmp_lt_u32_e64 s[18:19], 5, v42
	s_and_saveexec_b64 s[74:75], s[18:19]
	s_cbranch_execz .LBB2_1071
.LBB2_1081:                             ;   in Loop: Header=BB2_601 Depth=2
	v_lshrrev_b32_e32 v0, 8, v18
	flat_store_byte v[46:47], v0 offset:5
	s_or_b64 exec, exec, s[74:75]
	v_cmp_lt_u32_e64 s[18:19], 6, v42
	s_and_saveexec_b64 s[74:75], s[18:19]
	s_cbranch_execz .LBB2_1072
.LBB2_1082:                             ;   in Loop: Header=BB2_601 Depth=2
	flat_store_byte_d16_hi v[46:47], v18 offset:6
	s_or_b64 exec, exec, s[74:75]
	s_and_saveexec_b64 s[18:19], vcc
	s_cbranch_execnz .LBB2_1073
	s_branch .LBB2_1074
.LBB2_1083:                             ;   in Loop: Header=BB2_21 Depth=1
	s_or_b64 exec, exec, s[72:73]
.LBB2_1084:                             ;   in Loop: Header=BB2_21 Depth=1
	s_or_b64 exec, exec, s[20:21]
	buffer_load_dword v36, off, s[0:3], s32 offset:164 ; 4-byte Folded Reload
	buffer_load_dword v37, off, s[0:3], s32 offset:168 ; 4-byte Folded Reload
	buffer_load_dword v38, off, s[0:3], s32 offset:172 ; 4-byte Folded Reload
	buffer_load_dword v39, off, s[0:3], s32 offset:176 ; 4-byte Folded Reload
	buffer_load_dword v23, off, s[0:3], s32 offset:180 ; 4-byte Folded Reload
	buffer_load_dword v24, off, s[0:3], s32 offset:184 ; 4-byte Folded Reload
	buffer_load_dword v32, off, s[0:3], s32 offset:132 ; 4-byte Folded Reload
	buffer_load_dword v33, off, s[0:3], s32 offset:136 ; 4-byte Folded Reload
	buffer_load_dword v30, off, s[0:3], s32 offset:196 ; 4-byte Folded Reload
	buffer_load_dword v36, off, s[0:3], s32 offset:140 ; 4-byte Folded Reload
	buffer_load_dword v37, off, s[0:3], s32 offset:144 ; 4-byte Folded Reload
	s_and_saveexec_b64 s[18:19], s[10:11]
	s_cbranch_execz .LBB2_1103
; %bb.1085:                             ;   in Loop: Header=BB2_21 Depth=1
	s_and_saveexec_b64 s[20:21], s[42:43]
	s_xor_b64 s[20:21], exec, s[20:21]
	s_cbranch_execz .LBB2_1100
; %bb.1086:                             ;   in Loop: Header=BB2_21 Depth=1
	s_and_saveexec_b64 s[72:73], s[12:13]
	s_cbranch_execz .LBB2_1099
; %bb.1087:                             ;   in Loop: Header=BB2_21 Depth=1
	s_mov_b64 s[76:77], exec
	s_waitcnt lgkmcnt(0)
	v_mbcnt_lo_u32_b32 v0, s76, 0
	v_mbcnt_hi_u32_b32 v0, s77, v0
	v_cmp_eq_u32_e32 vcc, 0, v0
	s_waitcnt vmcnt(0)
	buffer_wbinvl1_vol
	s_and_saveexec_b64 s[74:75], vcc
	s_cbranch_execz .LBB2_1089
; %bb.1088:                             ;   in Loop: Header=BB2_21 Depth=1
	s_bcnt1_i32_b64 s28, s[76:77]
	v_mov_b32_e32 v58, s28
	ds_add_u64 v0, v[58:59]
	s_trap 2
.LBB2_1089:                             ;   in Loop: Header=BB2_21 Depth=1
	s_or_b64 exec, exec, s[74:75]
	s_trap 2
	ds_read_b64 v[2:3], v0
	s_waitcnt lgkmcnt(0)
	buffer_load_dword v0, off, s[0:3], s32 offset:128 ; 4-byte Folded Reload
	s_waitcnt vmcnt(0)
	v_add_co_u32_e32 v40, vcc, v40, v0
	v_addc_co_u32_e32 v41, vcc, 0, v41, vcc
	v_cmp_lt_u64_e32 vcc, v[2:3], v[40:41]
	s_and_saveexec_b64 s[74:75], vcc
	s_cbranch_execz .LBB2_1098
; %bb.1090:                             ;   in Loop: Header=BB2_21 Depth=1
	s_mov_b32 s28, 0
	s_mov_b64 s[76:77], 0
                                        ; implicit-def: $sgpr78_sgpr79
                                        ; implicit-def: $sgpr88_sgpr89
	s_branch .LBB2_1092
.LBB2_1091:                             ;   in Loop: Header=BB2_1092 Depth=2
	s_or_b64 exec, exec, s[92:93]
	s_and_b64 s[90:91], exec, s[94:95]
	s_or_b64 s[76:77], s[90:91], s[76:77]
	s_andn2_b64 s[78:79], s[78:79], exec
	s_and_b64 s[90:91], s[88:89], exec
	s_or_b64 s[78:79], s[78:79], s[90:91]
	s_andn2_b64 exec, exec, s[76:77]
	s_cbranch_execz .LBB2_1096
.LBB2_1092:                             ;   Parent Loop BB2_21 Depth=1
                                        ; =>  This Inner Loop Header: Depth=2
	s_add_i32 s28, s28, 1
	s_cmpk_lg_i32 s28, 0x2710
	s_cselect_b64 s[90:91], -1, 0
	s_and_b64 vcc, exec, s[90:91]
	s_cbranch_vccz .LBB2_1094
; %bb.1093:                             ;   in Loop: Header=BB2_1092 Depth=2
	s_mov_b64 s[94:95], -1
	s_or_b64 s[88:89], s[88:89], exec
	s_and_saveexec_b64 s[92:93], s[90:91]
	s_cbranch_execz .LBB2_1091
	s_branch .LBB2_1095
.LBB2_1094:                             ;   in Loop: Header=BB2_1092 Depth=2
	s_trap 2
	ds_read_b64 v[2:3], v0
	s_andn2_b64 s[90:91], s[90:91], exec
	s_mov_b32 s28, 0
	s_waitcnt lgkmcnt(0)
	flat_load_dword v0, v[2:3] glc
	s_waitcnt vmcnt(0) lgkmcnt(0)
	buffer_wbinvl1_vol
	v_cmp_eq_u32_e32 vcc, 0, v0
	s_and_b64 s[92:93], vcc, exec
	s_or_b64 s[90:91], s[90:91], s[92:93]
	s_mov_b64 s[94:95], -1
	s_or_b64 s[88:89], s[88:89], exec
	s_and_saveexec_b64 s[92:93], s[90:91]
	s_cbranch_execz .LBB2_1091
.LBB2_1095:                             ;   in Loop: Header=BB2_1092 Depth=2
	s_sleep 1
	s_trap 2
	ds_read_b64 v[2:3], v0
	s_waitcnt lgkmcnt(0)
	s_andn2_b64 s[88:89], s[88:89], exec
	v_cmp_ge_u64_e32 vcc, v[2:3], v[40:41]
	s_orn2_b64 s[94:95], vcc, exec
	s_branch .LBB2_1091
.LBB2_1096:                             ;   in Loop: Header=BB2_21 Depth=1
	s_or_b64 exec, exec, s[76:77]
	s_and_saveexec_b64 s[76:77], s[78:79]
	s_xor_b64 s[76:77], exec, s[76:77]
	s_cbranch_execz .LBB2_1098
; %bb.1097:                             ;   in Loop: Header=BB2_21 Depth=1
	v_mov_b32_e32 v0, 1
	ds_write_b32 v0, v0
	s_trap 2
.LBB2_1098:                             ;   in Loop: Header=BB2_21 Depth=1
	s_or_b64 exec, exec, s[74:75]
	;;#ASMSTART
	s_wakeup
	;;#ASMEND
.LBB2_1099:                             ;   in Loop: Header=BB2_21 Depth=1
	s_or_b64 exec, exec, s[72:73]
.LBB2_1100:                             ;   in Loop: Header=BB2_21 Depth=1
	s_andn2_saveexec_b64 s[20:21], s[20:21]
	s_cbranch_execz .LBB2_1102
; %bb.1101:                             ;   in Loop: Header=BB2_21 Depth=1
	s_waitcnt vmcnt(0) lgkmcnt(0)
	buffer_wbinvl1_vol
	s_barrier
.LBB2_1102:                             ;   in Loop: Header=BB2_21 Depth=1
	s_or_b64 exec, exec, s[20:21]
.LBB2_1103:                             ;   in Loop: Header=BB2_21 Depth=1
	s_or_b64 exec, exec, s[18:19]
	s_and_saveexec_b64 s[18:19], s[16:17]
	s_cbranch_execz .LBB2_20
; %bb.1104:                             ;   in Loop: Header=BB2_21 Depth=1
	buffer_load_dword v2, off, s[0:3], s32 offset:92 ; 4-byte Folded Reload
	buffer_load_dword v3, off, s[0:3], s32 offset:96 ; 4-byte Folded Reload
	v_add_co_u32_e32 v60, vcc, 1, v60
	v_addc_co_u32_e32 v61, vcc, 0, v61, vcc
	s_waitcnt vmcnt(0)
	flat_store_dwordx2 v[2:3], v[60:61]
	s_branch .LBB2_20
.LBB2_1105:
	s_or_b64 exec, exec, s[40:41]
	buffer_load_dword v31, off, s[0:3], s32 offset:244 ; 4-byte Folded Reload
	buffer_load_dword v12, off, s[0:3], s32 offset:248 ; 4-byte Folded Reload
	;; [unrolled: 1-line block ×6, first 2 shown]
.LBB2_1106:
	s_or_b64 exec, exec, s[26:27]
; %bb.1107:
	s_and_saveexec_b64 s[6:7], s[24:25]
	s_cbranch_execnz .LBB2_1110
; %bb.1108:
	s_or_b64 exec, exec, s[6:7]
	s_and_saveexec_b64 s[6:7], s[4:5]
	s_cbranch_execnz .LBB2_1111
.LBB2_1109:
	s_or_b64 exec, exec, s[6:7]
	v_cmp_ne_u32_e32 vcc, 64, v1
	s_and_saveexec_b64 s[4:5], vcc
	s_cbranch_execnz .LBB2_1112
	s_branch .LBB2_1129
.LBB2_1110:
	s_waitcnt vmcnt(0) lgkmcnt(0)
	flat_store_dwordx2 v[25:26], v[60:61] offset:104
	s_or_b64 exec, exec, s[6:7]
	s_and_saveexec_b64 s[6:7], s[4:5]
	s_cbranch_execz .LBB2_1109
.LBB2_1111:
	s_waitcnt vmcnt(0) lgkmcnt(0)
	flat_store_dwordx2 v[23:24], v[15:16] offset:104
	s_or_b64 exec, exec, s[6:7]
	v_cmp_ne_u32_e32 vcc, 64, v1
	s_and_saveexec_b64 s[4:5], vcc
	s_cbranch_execz .LBB2_1129
.LBB2_1112:
	s_waitcnt vmcnt(0)
	v_cmp_ne_u32_sdwa s[6:7], v1, v12 src0_sel:DWORD src1_sel:WORD_0
	s_and_saveexec_b64 s[8:9], s[6:7]
	s_xor_b64 s[6:7], exec, s[8:9]
	s_cbranch_execz .LBB2_1127
; %bb.1113:
	s_waitcnt lgkmcnt(0)
	v_and_b32_e32 v0, 63, v31
	v_cmp_eq_u32_e32 vcc, 0, v0
	s_and_saveexec_b64 s[8:9], vcc
	s_cbranch_execz .LBB2_1126
; %bb.1114:
	s_mov_b64 s[12:13], exec
	v_mbcnt_lo_u32_b32 v0, s12, 0
	v_mbcnt_hi_u32_b32 v0, s13, v0
	v_cmp_eq_u32_e32 vcc, 0, v0
	buffer_wbinvl1_vol
	s_and_saveexec_b64 s[10:11], vcc
	s_cbranch_execz .LBB2_1116
; %bb.1115:
	s_bcnt1_i32_b64 s12, s[12:13]
	v_mov_b32_e32 v2, s12
	v_mov_b32_e32 v3, 0
	ds_add_u64 v0, v[2:3]
	s_trap 2
.LBB2_1116:
	s_or_b64 exec, exec, s[10:11]
	v_lshrrev_b32_e32 v0, 6, v1
	s_trap 2
	ds_read_b64 v[2:3], v0
	s_waitcnt lgkmcnt(0)
	v_add_co_u32_e32 v0, vcc, v40, v0
	v_addc_co_u32_e32 v1, vcc, 0, v41, vcc
	v_cmp_lt_u64_e32 vcc, v[2:3], v[0:1]
	s_and_saveexec_b64 s[10:11], vcc
	s_cbranch_execz .LBB2_1125
; %bb.1117:
	s_mov_b32 s24, 0
	s_mov_b64 s[12:13], 0
                                        ; implicit-def: $sgpr14_sgpr15
                                        ; implicit-def: $sgpr16_sgpr17
	s_branch .LBB2_1119
.LBB2_1118:                             ;   in Loop: Header=BB2_1119 Depth=1
	s_or_b64 exec, exec, s[20:21]
	s_and_b64 s[18:19], exec, s[22:23]
	s_or_b64 s[12:13], s[18:19], s[12:13]
	s_andn2_b64 s[14:15], s[14:15], exec
	s_and_b64 s[18:19], s[16:17], exec
	s_or_b64 s[14:15], s[14:15], s[18:19]
	s_andn2_b64 exec, exec, s[12:13]
	s_cbranch_execz .LBB2_1123
.LBB2_1119:                             ; =>This Inner Loop Header: Depth=1
	s_add_i32 s24, s24, 1
	s_cmpk_lg_i32 s24, 0x2710
	s_cselect_b64 s[18:19], -1, 0
	s_and_b64 vcc, exec, s[18:19]
	s_cbranch_vccz .LBB2_1121
; %bb.1120:                             ;   in Loop: Header=BB2_1119 Depth=1
	s_mov_b64 s[22:23], -1
	s_or_b64 s[16:17], s[16:17], exec
	s_and_saveexec_b64 s[20:21], s[18:19]
	s_cbranch_execz .LBB2_1118
	s_branch .LBB2_1122
.LBB2_1121:                             ;   in Loop: Header=BB2_1119 Depth=1
	s_trap 2
	ds_read_b64 v[2:3], v0
	s_andn2_b64 s[18:19], s[18:19], exec
	s_mov_b32 s24, 0
	s_waitcnt lgkmcnt(0)
	flat_load_dword v2, v[2:3] glc
	s_waitcnt vmcnt(0) lgkmcnt(0)
	buffer_wbinvl1_vol
	v_cmp_eq_u32_e32 vcc, 0, v2
	s_and_b64 s[20:21], vcc, exec
	s_or_b64 s[18:19], s[18:19], s[20:21]
	s_mov_b64 s[22:23], -1
	s_or_b64 s[16:17], s[16:17], exec
	s_and_saveexec_b64 s[20:21], s[18:19]
	s_cbranch_execz .LBB2_1118
.LBB2_1122:                             ;   in Loop: Header=BB2_1119 Depth=1
	s_sleep 1
	s_trap 2
	ds_read_b64 v[2:3], v0
	s_waitcnt lgkmcnt(0)
	s_andn2_b64 s[16:17], s[16:17], exec
	v_cmp_ge_u64_e32 vcc, v[2:3], v[0:1]
	s_orn2_b64 s[22:23], vcc, exec
	s_branch .LBB2_1118
.LBB2_1123:
	s_or_b64 exec, exec, s[12:13]
	s_and_saveexec_b64 s[12:13], s[14:15]
	s_xor_b64 s[12:13], exec, s[12:13]
	s_cbranch_execz .LBB2_1125
; %bb.1124:
	v_mov_b32_e32 v0, 1
	ds_write_b32 v0, v0
	s_trap 2
.LBB2_1125:
	s_or_b64 exec, exec, s[10:11]
	;;#ASMSTART
	s_wakeup
	;;#ASMEND
.LBB2_1126:
	s_or_b64 exec, exec, s[8:9]
.LBB2_1127:
	s_andn2_saveexec_b64 s[6:7], s[6:7]
	s_cbranch_execz .LBB2_1129
; %bb.1128:
	s_waitcnt lgkmcnt(0)
	buffer_wbinvl1_vol
	s_barrier
.LBB2_1129:
	s_or_b64 exec, exec, s[4:5]
	buffer_load_dword v62, off, s[0:3], s32 ; 4-byte Folded Reload
	s_waitcnt lgkmcnt(0)
	buffer_load_dword v61, off, s[0:3], s32 offset:4 ; 4-byte Folded Reload
	buffer_load_dword v60, off, s[0:3], s32 offset:8 ; 4-byte Folded Reload
	;; [unrolled: 1-line block ×14, first 2 shown]
	v_readlane_b32 s30, v63, 14
	v_readlane_b32 s31, v63, 15
	;; [unrolled: 1-line block ×16, first 2 shown]
	s_or_saveexec_b64 s[4:5], -1
	buffer_load_dword v63, off, s[0:3], s32 offset:268 ; 4-byte Folded Reload
	s_mov_b64 exec, s[4:5]
	s_waitcnt vmcnt(0)
	s_setpc_b64 s[30:31]
.Lfunc_end2:
	.size	_ZN12_GLOBAL__N_17runRingI14__hip_fp8_e5m210FuncMinMaxIS1_E7ProtoLLLi0ELi2ELi0EEEviiP15ncclDevWorkColl, .Lfunc_end2-_ZN12_GLOBAL__N_17runRingI14__hip_fp8_e5m210FuncMinMaxIS1_E7ProtoLLLi0ELi2ELi0EEEviiP15ncclDevWorkColl
                                        ; -- End function
	.set .L_ZN12_GLOBAL__N_17runRingI14__hip_fp8_e5m210FuncMinMaxIS1_E7ProtoLLLi0ELi2ELi0EEEviiP15ncclDevWorkColl.num_vgpr, 64
	.set .L_ZN12_GLOBAL__N_17runRingI14__hip_fp8_e5m210FuncMinMaxIS1_E7ProtoLLLi0ELi2ELi0EEEviiP15ncclDevWorkColl.num_agpr, 0
	.set .L_ZN12_GLOBAL__N_17runRingI14__hip_fp8_e5m210FuncMinMaxIS1_E7ProtoLLLi0ELi2ELi0EEEviiP15ncclDevWorkColl.numbered_sgpr, 96
	.set .L_ZN12_GLOBAL__N_17runRingI14__hip_fp8_e5m210FuncMinMaxIS1_E7ProtoLLLi0ELi2ELi0EEEviiP15ncclDevWorkColl.num_named_barrier, 0
	.set .L_ZN12_GLOBAL__N_17runRingI14__hip_fp8_e5m210FuncMinMaxIS1_E7ProtoLLLi0ELi2ELi0EEEviiP15ncclDevWorkColl.private_seg_size, 276
	.set .L_ZN12_GLOBAL__N_17runRingI14__hip_fp8_e5m210FuncMinMaxIS1_E7ProtoLLLi0ELi2ELi0EEEviiP15ncclDevWorkColl.uses_vcc, 1
	.set .L_ZN12_GLOBAL__N_17runRingI14__hip_fp8_e5m210FuncMinMaxIS1_E7ProtoLLLi0ELi2ELi0EEEviiP15ncclDevWorkColl.uses_flat_scratch, 0
	.set .L_ZN12_GLOBAL__N_17runRingI14__hip_fp8_e5m210FuncMinMaxIS1_E7ProtoLLLi0ELi2ELi0EEEviiP15ncclDevWorkColl.has_dyn_sized_stack, 0
	.set .L_ZN12_GLOBAL__N_17runRingI14__hip_fp8_e5m210FuncMinMaxIS1_E7ProtoLLLi0ELi2ELi0EEEviiP15ncclDevWorkColl.has_recursion, 0
	.set .L_ZN12_GLOBAL__N_17runRingI14__hip_fp8_e5m210FuncMinMaxIS1_E7ProtoLLLi0ELi2ELi0EEEviiP15ncclDevWorkColl.has_indirect_call, 0
	.section	.AMDGPU.csdata,"",@progbits
; Function info:
; codeLenInByte = 29728
; TotalNumSgprs: 100
; NumVgprs: 64
; ScratchSize: 276
; MemoryBound: 0
	.text
	.p2align	2                               ; -- Begin function _Z53ncclDevFunc_ReduceScatter_RING_LL_MinMax_f8e5m2_0_0_2v
	.type	_Z53ncclDevFunc_ReduceScatter_RING_LL_MinMax_f8e5m2_0_0_2v,@function
_Z53ncclDevFunc_ReduceScatter_RING_LL_MinMax_f8e5m2_0_0_2v: ; @_Z53ncclDevFunc_ReduceScatter_RING_LL_MinMax_f8e5m2_0_0_2v
; %bb.0:
	s_waitcnt vmcnt(0) expcnt(0) lgkmcnt(0)
	s_mov_b32 s4, s33
	s_mov_b32 s33, s32
	s_or_saveexec_b64 s[6:7], -1
	buffer_store_dword v43, off, s[0:3], s33 offset:16 ; 4-byte Folded Spill
	s_mov_b64 exec, s[6:7]
	v_writelane_b32 v43, s4, 22
	s_addk_i32 s32, 0x800
	buffer_store_dword v40, off, s[0:3], s33 offset:12 ; 4-byte Folded Spill
	buffer_store_dword v41, off, s[0:3], s33 offset:8 ; 4-byte Folded Spill
	buffer_store_dword v42, off, s[0:3], s33 offset:4 ; 4-byte Folded Spill
	buffer_store_dword v63, off, s[0:3], s33 ; 4-byte Folded Spill
	v_writelane_b32 v43, s34, 0
	v_writelane_b32 v43, s35, 1
	;; [unrolled: 1-line block ×22, first 2 shown]
	s_trap 2
	ds_read_b32 v0, v0
	v_mov_b32_e32 v40, v31
	v_and_b32_e32 v41, 0x3ff, v40
	s_mov_b32 s66, s12
	s_mov_b64 s[64:65], s[8:9]
	s_waitcnt lgkmcnt(0)
	v_cmp_lt_i32_e32 vcc, v41, v0
	s_and_saveexec_b64 s[4:5], vcc
	s_cbranch_execz .LBB3_5
; %bb.1:
	s_load_dword s6, s[64:65], 0x0
	v_mov_b32_e32 v1, 0
	s_mov_b32 s10, 0
	v_mov_b32_e32 v4, v41
                                        ; implicit-def: $vgpr3
	s_waitcnt lgkmcnt(0)
	s_cmp_lt_u32 s66, s6
	s_cselect_b32 s6, 12, 18
	s_add_u32 s6, s64, s6
	s_addc_u32 s7, s65, 0
	global_load_ushort v1, v1, s[6:7]
	s_trap 2
	ds_read_b32 v2, v0
	s_mov_b64 s[6:7], 0
	s_waitcnt vmcnt(0) lgkmcnt(0)
	v_mul_lo_u32 v2, v2, v1
	s_branch .LBB3_3
.LBB3_2:                                ;   in Loop: Header=BB3_3 Depth=1
	s_or_b64 exec, exec, s[8:9]
	v_add_u32_e32 v4, v4, v1
	v_cmp_ge_i32_e32 vcc, v4, v0
	s_or_b64 s[6:7], vcc, s[6:7]
	v_add_u32_e32 v3, v3, v2
	s_andn2_b64 exec, exec, s[6:7]
	s_cbranch_execz .LBB3_5
.LBB3_3:                                ; =>This Inner Loop Header: Depth=1
	ds_read_b32 v5, v3
	s_waitcnt lgkmcnt(0)
	v_and_b32_e32 v5, 0x1000000, v5
	v_cmp_ne_u32_e32 vcc, 0, v5
	s_and_saveexec_b64 s[8:9], vcc
	s_cbranch_execz .LBB3_2
; %bb.4:                                ;   in Loop: Header=BB3_3 Depth=1
	ds_read_b64 v[5:6], v3 offset:104
	s_waitcnt lgkmcnt(0)
	flat_load_ubyte v5, v[5:6]
	v_mov_b32_e32 v6, s10
	s_waitcnt vmcnt(0) lgkmcnt(0)
	v_and_b32_e32 v5, 0xffff, v5
	ds_write_b64 v3, v[5:6] offset:104
	s_branch .LBB3_2
.LBB3_5:
	s_or_b64 exec, exec, s[4:5]
	s_waitcnt vmcnt(0) lgkmcnt(0)
	s_barrier
	s_trap 2
	ds_read_b32 v0, v0
	s_waitcnt lgkmcnt(0)
	v_cmp_gt_i32_e32 vcc, 1, v0
	s_cbranch_vccnz .LBB3_13
; %bb.6:
	s_mov_b32 s67, 0
	v_mov_b32_e32 v42, 6
	s_branch .LBB3_8
.LBB3_7:                                ;   in Loop: Header=BB3_8 Depth=1
	s_or_b64 exec, exec, s[68:69]
	s_trap 2
	ds_read_b32 v0, v0
	s_add_i32 s67, s67, 1
	s_waitcnt lgkmcnt(0)
	v_cmp_lt_i32_e32 vcc, s67, v0
	s_cbranch_vccz .LBB3_13
.LBB3_8:                                ; =>This Inner Loop Header: Depth=1
	s_trap 2
	ds_read_b32 v0, v0
	s_cmp_eq_u32 s67, 0
	s_cbranch_scc1 .LBB3_11
; %bb.9:                                ;   in Loop: Header=BB3_8 Depth=1
	s_trap 2
	s_waitcnt lgkmcnt(0)
	ds_read_b32 v1, v0
	s_waitcnt lgkmcnt(0)
	v_xor_b32_e32 v1, v1, v0
	v_and_b32_e32 v1, 0xff0000, v1
	v_cmp_eq_u32_e32 vcc, 0, v1
	s_cbranch_vccnz .LBB3_11
; %bb.10:                               ;   in Loop: Header=BB3_8 Depth=1
	s_barrier
	ds_read_b32 v0, v0
.LBB3_11:                               ;   in Loop: Header=BB3_8 Depth=1
	s_waitcnt lgkmcnt(0)
	v_lshlrev_b32_sdwa v1, v42, v0 dst_sel:DWORD dst_unused:UNUSED_PAD src0_sel:DWORD src1_sel:BYTE_2
	v_cmp_lt_u32_e32 vcc, v41, v1
	s_and_saveexec_b64 s[68:69], vcc
	s_cbranch_execz .LBB3_7
; %bb.12:                               ;   in Loop: Header=BB3_8 Depth=1
	s_mov_b64 s[4:5], src_shared_base
	s_getpc_b64 s[6:7]
	s_add_u32 s6, s6, _ZN12_GLOBAL__N_17runRingI14__hip_fp8_e5m210FuncMinMaxIS1_E7ProtoLLLi0ELi2ELi0EEEviiP15ncclDevWorkColl@rel32@lo+4
	s_addc_u32 s7, s7, _ZN12_GLOBAL__N_17runRingI14__hip_fp8_e5m210FuncMinMaxIS1_E7ProtoLLLi0ELi2ELi0EEEviiP15ncclDevWorkColl@rel32@hi+12
	s_mov_b64 s[8:9], s[64:65]
	s_mov_b32 s12, s66
	v_mov_b32_e32 v31, v40
	v_mov_b32_e32 v0, v41
	;; [unrolled: 1-line block ×3, first 2 shown]
	s_swappc_b64 s[30:31], s[6:7]
	s_branch .LBB3_7
.LBB3_13:
	buffer_load_dword v63, off, s[0:3], s33 ; 4-byte Folded Reload
	buffer_load_dword v42, off, s[0:3], s33 offset:4 ; 4-byte Folded Reload
	buffer_load_dword v41, off, s[0:3], s33 offset:8 ; 4-byte Folded Reload
	;; [unrolled: 1-line block ×3, first 2 shown]
	v_readlane_b32 s30, v43, 20
	v_readlane_b32 s31, v43, 21
	;; [unrolled: 1-line block ×22, first 2 shown]
	s_mov_b32 s32, s33
	v_readlane_b32 s4, v43, 22
	s_or_saveexec_b64 s[6:7], -1
	buffer_load_dword v43, off, s[0:3], s33 offset:16 ; 4-byte Folded Reload
	s_mov_b64 exec, s[6:7]
	s_mov_b32 s33, s4
	s_waitcnt vmcnt(0)
	s_setpc_b64 s[30:31]
.Lfunc_end3:
	.size	_Z53ncclDevFunc_ReduceScatter_RING_LL_MinMax_f8e5m2_0_0_2v, .Lfunc_end3-_Z53ncclDevFunc_ReduceScatter_RING_LL_MinMax_f8e5m2_0_0_2v
                                        ; -- End function
	.set .L_Z53ncclDevFunc_ReduceScatter_RING_LL_MinMax_f8e5m2_0_0_2v.num_vgpr, max(64, .L_ZN12_GLOBAL__N_17runRingI14__hip_fp8_e5m210FuncMinMaxIS1_E7ProtoLLLi0ELi2ELi0EEEviiP15ncclDevWorkColl.num_vgpr)
	.set .L_Z53ncclDevFunc_ReduceScatter_RING_LL_MinMax_f8e5m2_0_0_2v.num_agpr, max(0, .L_ZN12_GLOBAL__N_17runRingI14__hip_fp8_e5m210FuncMinMaxIS1_E7ProtoLLLi0ELi2ELi0EEEviiP15ncclDevWorkColl.num_agpr)
	.set .L_Z53ncclDevFunc_ReduceScatter_RING_LL_MinMax_f8e5m2_0_0_2v.numbered_sgpr, max(70, .L_ZN12_GLOBAL__N_17runRingI14__hip_fp8_e5m210FuncMinMaxIS1_E7ProtoLLLi0ELi2ELi0EEEviiP15ncclDevWorkColl.numbered_sgpr)
	.set .L_Z53ncclDevFunc_ReduceScatter_RING_LL_MinMax_f8e5m2_0_0_2v.num_named_barrier, max(0, .L_ZN12_GLOBAL__N_17runRingI14__hip_fp8_e5m210FuncMinMaxIS1_E7ProtoLLLi0ELi2ELi0EEEviiP15ncclDevWorkColl.num_named_barrier)
	.set .L_Z53ncclDevFunc_ReduceScatter_RING_LL_MinMax_f8e5m2_0_0_2v.private_seg_size, 32+max(.L_ZN12_GLOBAL__N_17runRingI14__hip_fp8_e5m210FuncMinMaxIS1_E7ProtoLLLi0ELi2ELi0EEEviiP15ncclDevWorkColl.private_seg_size)
	.set .L_Z53ncclDevFunc_ReduceScatter_RING_LL_MinMax_f8e5m2_0_0_2v.uses_vcc, or(1, .L_ZN12_GLOBAL__N_17runRingI14__hip_fp8_e5m210FuncMinMaxIS1_E7ProtoLLLi0ELi2ELi0EEEviiP15ncclDevWorkColl.uses_vcc)
	.set .L_Z53ncclDevFunc_ReduceScatter_RING_LL_MinMax_f8e5m2_0_0_2v.uses_flat_scratch, or(0, .L_ZN12_GLOBAL__N_17runRingI14__hip_fp8_e5m210FuncMinMaxIS1_E7ProtoLLLi0ELi2ELi0EEEviiP15ncclDevWorkColl.uses_flat_scratch)
	.set .L_Z53ncclDevFunc_ReduceScatter_RING_LL_MinMax_f8e5m2_0_0_2v.has_dyn_sized_stack, or(0, .L_ZN12_GLOBAL__N_17runRingI14__hip_fp8_e5m210FuncMinMaxIS1_E7ProtoLLLi0ELi2ELi0EEEviiP15ncclDevWorkColl.has_dyn_sized_stack)
	.set .L_Z53ncclDevFunc_ReduceScatter_RING_LL_MinMax_f8e5m2_0_0_2v.has_recursion, or(1, .L_ZN12_GLOBAL__N_17runRingI14__hip_fp8_e5m210FuncMinMaxIS1_E7ProtoLLLi0ELi2ELi0EEEviiP15ncclDevWorkColl.has_recursion)
	.set .L_Z53ncclDevFunc_ReduceScatter_RING_LL_MinMax_f8e5m2_0_0_2v.has_indirect_call, or(0, .L_ZN12_GLOBAL__N_17runRingI14__hip_fp8_e5m210FuncMinMaxIS1_E7ProtoLLLi0ELi2ELi0EEEviiP15ncclDevWorkColl.has_indirect_call)
	.section	.AMDGPU.csdata,"",@progbits
; Function info:
; codeLenInByte = 960
; TotalNumSgprs: 100
; NumVgprs: 64
; ScratchSize: 308
; MemoryBound: 0
	.text
	.p2align	2                               ; -- Begin function _ZN12_GLOBAL__N_17runRingI14__hip_fp8_e5m210FuncMinMaxIS1_E7ProtoLLLi0ELi4ELi0EEEviiP15ncclDevWorkColl
	.type	_ZN12_GLOBAL__N_17runRingI14__hip_fp8_e5m210FuncMinMaxIS1_E7ProtoLLLi0ELi4ELi0EEEviiP15ncclDevWorkColl,@function
_ZN12_GLOBAL__N_17runRingI14__hip_fp8_e5m210FuncMinMaxIS1_E7ProtoLLLi0ELi4ELi0EEEviiP15ncclDevWorkColl: ; @_ZN12_GLOBAL__N_17runRingI14__hip_fp8_e5m210FuncMinMaxIS1_E7ProtoLLLi0ELi4ELi0EEEviiP15ncclDevWorkColl
; %bb.0:
	s_waitcnt vmcnt(0) expcnt(0) lgkmcnt(0)
	s_or_saveexec_b64 s[4:5], -1
	buffer_store_dword v63, off, s[0:3], s32 offset:268 ; 4-byte Folded Spill
	s_mov_b64 exec, s[4:5]
	buffer_store_dword v40, off, s[0:3], s32 offset:56 ; 4-byte Folded Spill
	buffer_store_dword v41, off, s[0:3], s32 offset:52 ; 4-byte Folded Spill
	;; [unrolled: 1-line block ×14, first 2 shown]
	buffer_store_dword v62, off, s[0:3], s32 ; 4-byte Folded Spill
	v_writelane_b32 v63, s34, 0
	v_writelane_b32 v63, s35, 1
	;; [unrolled: 1-line block ×16, first 2 shown]
	s_trap 2
	flat_load_dword v6, v[2:3]
	flat_load_dwordx4 v[36:39], v[2:3] offset:72
	flat_load_dwordx2 v[17:18], v[2:3] offset:88
	v_mov_b32_e32 v11, v0
	ds_read_b32 v4, v0
	s_waitcnt lgkmcnt(0)
	v_readfirstlane_b32 s22, v4
	s_waitcnt vmcnt(0)
	v_not_b32_sdwa v5, v6 dst_sel:DWORD dst_unused:UNUSED_PAD src0_sel:BYTE_0
	v_add_u32_sdwa v0, v6, v5 dst_sel:DWORD dst_unused:UNUSED_PAD src0_sel:BYTE_1 src1_sel:DWORD
	v_ashrrev_i32_e32 v7, 31, v0
	v_mul_lo_u32 v8, v39, v0
	v_mad_u64_u32 v[19:20], s[4:5], v38, v0, 0
	v_mul_lo_u32 v0, v38, v7
	v_cmp_ne_u32_sdwa s[4:5], v4, v6 src0_sel:DWORD src1_sel:BYTE_0
	ds_read_b64 v[44:45], v0
	v_add3_u32 v0, v20, v0, v8
                                        ; implicit-def: $vgpr20_vgpr21
                                        ; implicit-def: $vgpr7_vgpr8
                                        ; kill: killed $vgpr7_vgpr8
	s_and_saveexec_b64 s[6:7], s[4:5]
	s_xor_b64 s[4:5], exec, s[6:7]
	s_cbranch_execz .LBB4_6
; %bb.1:
	v_cmp_ne_u32_sdwa s[6:7], v4, v6 src0_sel:DWORD src1_sel:BYTE_1
                                        ; implicit-def: $vgpr20_vgpr21
                                        ; implicit-def: $vgpr6_vgpr7
                                        ; kill: killed $vgpr6_vgpr7
	s_and_saveexec_b64 s[10:11], s[6:7]
	s_xor_b64 s[6:7], exec, s[10:11]
	s_cbranch_execz .LBB4_3
; %bb.2:
	flat_load_dwordx2 v[6:7], v[2:3] offset:96
	v_add_u32_e32 v4, v4, v5
	v_ashrrev_i32_e32 v5, 31, v4
	v_mul_lo_u32 v5, v38, v5
	v_mul_lo_u32 v8, v39, v4
	v_mad_u64_u32 v[9:10], s[10:11], v38, v4, v[36:37]
	v_add3_u32 v10, v8, v10, v5
	buffer_store_dword v9, off, s[0:3], s32 offset:156 ; 4-byte Folded Spill
	s_nop 0
	buffer_store_dword v10, off, s[0:3], s32 offset:160 ; 4-byte Folded Spill
	s_waitcnt vmcnt(0) lgkmcnt(0)
	v_lshrrev_b64 v[20:21], 17, v[6:7]
.LBB4_3:
	s_andn2_saveexec_b64 s[6:7], s[6:7]
	s_cbranch_execz .LBB4_5
; %bb.4:
	flat_load_dword v4, v[2:3] offset:100
	v_add_co_u32_e32 v5, vcc, v19, v36
	v_mov_b32_e32 v39, v18
	v_addc_co_u32_e32 v6, vcc, v0, v37, vcc
	v_mov_b32_e32 v38, v17
	buffer_store_dword v5, off, s[0:3], s32 offset:156 ; 4-byte Folded Spill
	s_nop 0
	buffer_store_dword v6, off, s[0:3], s32 offset:160 ; 4-byte Folded Spill
	s_waitcnt vmcnt(0) lgkmcnt(0)
	v_lshrrev_b32_e32 v20, 6, v4
.LBB4_5:
	s_or_b64 exec, exec, s[6:7]
.LBB4_6:
	s_andn2_saveexec_b64 s[4:5], s[4:5]
	s_cbranch_execz .LBB4_8
; %bb.7:
	flat_load_dwordx2 v[4:5], v[2:3] offset:96
	v_mov_b32_e32 v39, v37
	v_mov_b32_e32 v38, v36
	s_waitcnt vmcnt(0) lgkmcnt(0)
	v_lshlrev_b64 v[20:21], 4, v[4:5]
	v_mov_b32_e32 v4, 0
	v_mov_b32_e32 v5, 0
	buffer_store_dword v4, off, s[0:3], s32 offset:156 ; 4-byte Folded Spill
	s_nop 0
	buffer_store_dword v5, off, s[0:3], s32 offset:160 ; 4-byte Folded Spill
.LBB4_8:
	s_or_b64 exec, exec, s[4:5]
	flat_load_dwordx2 v[27:28], v[2:3] offset:104
	flat_load_ushort v5, v[2:3] offset:8
	flat_load_dword v4, v[2:3] offset:4
	flat_load_dwordx4 v[6:9], v[2:3] offset:16
	s_load_dword s4, s[8:9], 0x0
	v_mov_b32_e32 v3, 0
	v_mov_b32_e32 v23, 0
	s_mov_b32 s6, 0
	v_mov_b32_e32 v24, 0
	s_waitcnt lgkmcnt(0)
	s_cmp_lt_u32 s12, s4
	s_cselect_b32 s4, 12, 18
	s_add_u32 s4, s8, s4
	s_addc_u32 s5, s9, 0
	s_waitcnt vmcnt(0)
	buffer_store_dword v6, off, s[0:3], s32 offset:204 ; 4-byte Folded Spill
	s_nop 0
	buffer_store_dword v7, off, s[0:3], s32 offset:208 ; 4-byte Folded Spill
	buffer_store_dword v8, off, s[0:3], s32 offset:212 ; 4-byte Folded Spill
	;; [unrolled: 1-line block ×3, first 2 shown]
	global_load_ushort v12, v3, s[4:5]
	s_trap 2
	ds_read_b32 v2, v0
	v_lshrrev_b64 v[4:5], 31, v[4:5]
	v_and_b32_e32 v5, 3, v4
	v_and_b32_e32 v4, 63, v11
	s_waitcnt lgkmcnt(0)
	v_cmp_gt_i32_e32 vcc, 0, v2
	v_readfirstlane_b32 s8, v2
	v_cmp_eq_u32_e64 s[4:5], 0, v4
	s_cbranch_vccnz .LBB4_10
; %bb.9:
	s_trap 2
	ds_read_b64 v[6:7], v0
	v_lshlrev_b64 v[2:3], 3, v[2:3]
	s_movk_i32 s6, 0xa8
	s_waitcnt lgkmcnt(0)
	v_add_co_u32_e32 v2, vcc, v6, v2
	v_addc_co_u32_e32 v3, vcc, v7, v3, vcc
	flat_load_dwordx2 v[2:3], v[2:3]
	v_and_b32_e32 v6, 0xffff, v5
	s_waitcnt vmcnt(0) lgkmcnt(0)
	v_mad_u64_u32 v[2:3], s[6:7], v6, s6, v[2:3]
	s_mov_b32 s6, 1
	flat_load_dwordx2 v[6:7], v[2:3] offset:504
	v_add_co_u32_e32 v25, vcc, 0x1f8, v2
	v_addc_co_u32_e32 v26, vcc, 0, v3, vcc
	s_waitcnt vmcnt(0) lgkmcnt(0)
	buffer_store_dword v6, off, s[0:3], s32 offset:100 ; 4-byte Folded Spill
	s_nop 0
	buffer_store_dword v7, off, s[0:3], s32 offset:104 ; 4-byte Folded Spill
	flat_load_dwordx2 v[34:35], v[2:3] offset:608
	v_cndmask_b32_e64 v3, 0, v26, s[4:5]
	v_cndmask_b32_e64 v2, 0, v25, s[4:5]
	s_branch .LBB4_11
.LBB4_10:
	v_mov_b32_e32 v25, 0
	v_mov_b32_e32 v2, 0
	;; [unrolled: 1-line block ×4, first 2 shown]
                                        ; implicit-def: $vgpr34_vgpr35
                                        ; implicit-def: $vgpr6_vgpr7
                                        ; kill: killed $vgpr6_vgpr7
.LBB4_11:
	s_trap 2
	ds_read_b32 v9, v0
	s_waitcnt lgkmcnt(0)
	v_cmp_gt_i32_e32 vcc, 0, v9
	s_cbranch_vccnz .LBB4_13
; %bb.12:
	s_trap 2
	ds_read_b64 v[6:7], v0
	v_mov_b32_e32 v10, 0
	v_lshlrev_b64 v[8:9], 3, v[9:10]
	v_and_b32_e32 v5, 0xffff, v5
	s_movk_i32 s4, 0xa8
	s_waitcnt lgkmcnt(0)
	v_add_co_u32_e32 v6, vcc, v6, v8
	v_addc_co_u32_e32 v7, vcc, v7, v9, vcc
	flat_load_dwordx2 v[6:7], v[6:7]
	v_cmp_eq_u32_e32 vcc, 0, v4
	s_waitcnt vmcnt(0) lgkmcnt(0)
	v_mad_u64_u32 v[23:24], s[4:5], v5, s4, v[6:7]
	flat_load_dwordx2 v[5:6], v[23:24]
	v_cndmask_b32_e32 v10, 0, v24, vcc
	v_cndmask_b32_e32 v9, 0, v23, vcc
	s_waitcnt vmcnt(0) lgkmcnt(0)
	buffer_store_dword v5, off, s[0:3], s32 offset:68 ; 4-byte Folded Spill
	s_nop 0
	buffer_store_dword v6, off, s[0:3], s32 offset:72 ; 4-byte Folded Spill
	flat_load_dwordx2 v[21:22], v[23:24] offset:104
	s_branch .LBB4_14
.LBB4_13:
	v_mov_b32_e32 v9, 0
	v_mov_b32_e32 v10, 0
                                        ; implicit-def: $vgpr21_vgpr22
                                        ; implicit-def: $vgpr5_vgpr6
                                        ; kill: killed $vgpr5_vgpr6
.LBB4_14:
	v_subrev_u32_e32 v5, 64, v1
	v_cmp_ge_i32_e32 vcc, v11, v5
	v_cmp_gt_u32_e64 s[4:5], s6, v4
	v_mov_b32_e32 v13, 0
	v_mov_b32_e32 v4, 0
	;; [unrolled: 1-line block ×4, first 2 shown]
	s_and_b64 s[24:25], vcc, s[4:5]
	buffer_store_dword v4, off, s[0:3], s32 offset:92 ; 4-byte Folded Spill
	s_nop 0
	buffer_store_dword v5, off, s[0:3], s32 offset:96 ; 4-byte Folded Spill
                                        ; implicit-def: $vgpr60_vgpr61
	s_and_saveexec_b64 s[4:5], s[24:25]
	s_cbranch_execz .LBB4_16
; %bb.15:
	flat_load_dwordx2 v[4:5], v[2:3] offset:56
	s_waitcnt vmcnt(0) lgkmcnt(0)
	buffer_store_dword v4, off, s[0:3], s32 offset:92 ; 4-byte Folded Spill
	s_nop 0
	buffer_store_dword v5, off, s[0:3], s32 offset:96 ; 4-byte Folded Spill
	flat_load_dwordx2 v[60:61], v[2:3] offset:104
.LBB4_16:
	s_or_b64 exec, exec, s[4:5]
	v_mov_b32_e32 v50, 0
	v_mov_b32_e32 v51, 0
	v_cmp_gt_u32_e64 s[4:5], s6, v11
                                        ; implicit-def: $vgpr52_vgpr53
	s_and_saveexec_b64 s[6:7], s[4:5]
	s_cbranch_execz .LBB4_18
; %bb.17:
	flat_load_dwordx2 v[50:51], v[9:10] offset:56
	s_waitcnt vmcnt(0) lgkmcnt(0)
	flat_load_dwordx2 v[52:53], v[50:51] glc
	s_waitcnt vmcnt(0)
	flat_load_dwordx4 v[13:16], v[9:10] offset:96
.LBB4_18:
	s_or_b64 exec, exec, s[6:7]
	v_mov_b32_e32 v40, 0
	v_cmp_ne_u64_e32 vcc, 0, v[38:39]
	v_mov_b32_e32 v41, 0
	s_and_saveexec_b64 s[26:27], vcc
	s_cbranch_execz .LBB4_1106
; %bb.19:
	v_add_co_u32_e32 v2, vcc, v17, v36
	s_ashr_i32 s6, s8, 31
	v_addc_co_u32_e32 v3, vcc, v18, v37, vcc
	s_lshr_b32 s6, s6, 29
	v_add_co_u32_e32 v2, vcc, v2, v19
	s_ashr_i32 s23, s22, 31
	s_add_i32 s8, s8, s6
	v_addc_co_u32_e32 v0, vcc, v3, v0, vcc
	s_lshl_b64 s[6:7], s[22:23], 2
	buffer_store_dword v25, off, s[0:3], s32 offset:260 ; 4-byte Folded Spill
	s_nop 0
	buffer_store_dword v26, off, s[0:3], s32 offset:264 ; 4-byte Folded Spill
	buffer_store_dword v23, off, s[0:3], s32 offset:252 ; 4-byte Folded Spill
	s_nop 0
	buffer_store_dword v24, off, s[0:3], s32 offset:256 ; 4-byte Folded Spill
	buffer_store_dword v2, off, s[0:3], s32 offset:84 ; 4-byte Folded Spill
	;; [unrolled: 1-line block ×3, first 2 shown]
	v_mov_b32_e32 v0, s7
	v_add_co_u32_e32 v2, vcc, s6, v44
	v_addc_co_u32_e32 v0, vcc, v45, v0, vcc
	v_add_co_u32_e32 v2, vcc, -4, v2
	v_addc_co_u32_e32 v3, vcc, -1, v0, vcc
	v_and_b32_e32 v0, 63, v31
	v_cmp_eq_u32_e64 s[12:13], 0, v0
	v_lshrrev_b32_e32 v0, 6, v1
	buffer_store_dword v2, off, s[0:3], s32 offset:188 ; 4-byte Folded Spill
	s_nop 0
	buffer_store_dword v3, off, s[0:3], s32 offset:192 ; 4-byte Folded Spill
	s_waitcnt vmcnt(0)
	buffer_store_dword v12, off, s[0:3], s32 offset:248 ; 4-byte Folded Spill
	buffer_store_dword v31, off, s[0:3], s32 offset:244 ; 4-byte Folded Spill
	;; [unrolled: 1-line block ×3, first 2 shown]
	buffer_load_dword v2, off, s[0:3], s32 offset:204 ; 4-byte Folded Reload
	buffer_load_dword v3, off, s[0:3], s32 offset:208 ; 4-byte Folded Reload
	;; [unrolled: 1-line block ×4, first 2 shown]
	v_lshlrev_b32_e32 v8, 3, v11
	s_ashr_i32 s10, s8, 3
	s_and_b32 s23, s10, -16
	v_cmp_ne_u32_e64 s[10:11], 64, v1
	v_cmp_ne_u32_sdwa s[42:43], v1, v12 src0_sel:DWORD src1_sel:WORD_0
	v_lshlrev_b32_e32 v26, 3, v1
	v_lshlrev_b32_e32 v30, 6, v1
	v_mov_b32_e32 v59, 0
	v_mov_b32_e32 v12, v59
	s_ashr_i32 s38, s8, 7
	v_cmp_ne_u64_e64 s[6:7], 0, v[50:51]
	s_waitcnt lgkmcnt(0)
	v_cmp_ne_u64_e64 s[8:9], 0, v[13:14]
	s_cmp_gt_i32 s22, 2
	s_mov_b32 s56, -1
	v_mov_b32_e32 v36, 0
	v_mov_b32_e32 v40, 0
	v_and_b32_e32 v23, 0x1fffff0, v20
	s_mov_b32 s29, 0
	v_mov_b32_e32 v24, v59
	s_mov_b64 s[40:41], 0
	s_cselect_b64 s[44:45], -1, 0
	s_mov_b64 s[46:47], 0x7ffffff8
	s_movk_i32 s39, 0xff
	s_movk_i32 s48, 0xff80
	;; [unrolled: 1-line block ×3, first 2 shown]
	s_mov_b32 s57, 0xffffff
	s_mov_b64 s[58:59], 0x7f800000
	s_movk_i32 s50, 0x80
	s_mov_b64 s[60:61], 0x47600001
	s_movk_i32 s51, 0x72
	s_mov_b64 s[62:63], 0xffffff
	s_movk_i32 s52, 0x7f
	s_mov_b32 s53, 0x7c0000
	s_brev_b32 s54, 62
	v_mov_b32_e32 v43, -1
	v_mov_b32_e32 v54, 0x7f800000
	v_mov_b32_e32 v55, 0x7f800001
	;; [unrolled: 1-line block ×4, first 2 shown]
	v_bfrev_b32_e32 v49, 0.5
	v_mov_b32_e32 v31, 0x7c
	v_mov_b32_e32 v9, 0
	;; [unrolled: 1-line block ×4, first 2 shown]
	s_waitcnt vmcnt(1)
	v_add_co_u32_e32 v0, vcc, v4, v8
	buffer_store_dword v0, off, s[0:3], s32 offset:220 ; 4-byte Folded Spill
	s_waitcnt vmcnt(1)
	v_addc_co_u32_e32 v0, vcc, 0, v5, vcc
	buffer_store_dword v0, off, s[0:3], s32 offset:224 ; 4-byte Folded Spill
	v_and_b32_e32 v0, 1, v27
	v_cmp_eq_u32_e64 s[14:15], 1, v0
	v_add_co_u32_e32 v0, vcc, v2, v8
	buffer_load_dword v6, off, s[0:3], s32 offset:92 ; 4-byte Folded Reload
	buffer_load_dword v7, off, s[0:3], s32 offset:96 ; 4-byte Folded Reload
	s_waitcnt vmcnt(0)
	v_cmp_ne_u64_e64 s[16:17], 0, v[6:7]
	buffer_store_dword v0, off, s[0:3], s32 offset:228 ; 4-byte Folded Spill
	v_addc_co_u32_e32 v0, vcc, 0, v3, vcc
	buffer_store_dword v0, off, s[0:3], s32 offset:232 ; 4-byte Folded Spill
	buffer_load_dword v2, off, s[0:3], s32 offset:156 ; 4-byte Folded Reload
	buffer_load_dword v3, off, s[0:3], s32 offset:160 ; 4-byte Folded Reload
	s_waitcnt vmcnt(1)
	v_add_co_u32_e32 v0, vcc, v2, v4
	s_waitcnt vmcnt(0)
	v_addc_co_u32_e32 v2, vcc, v3, v5, vcc
	v_add_co_u32_e32 v32, vcc, v0, v8
	v_mov_b32_e32 v0, v11
	buffer_store_dword v8, off, s[0:3], s32 offset:152 ; 4-byte Folded Spill
	buffer_store_dword v0, off, s[0:3], s32 offset:60 ; 4-byte Folded Spill
	s_nop 0
	buffer_store_dword v1, off, s[0:3], s32 offset:64 ; 4-byte Folded Spill
	buffer_load_dword v4, off, s[0:3], s32 offset:68 ; 4-byte Folded Reload
	buffer_load_dword v5, off, s[0:3], s32 offset:72 ; 4-byte Folded Reload
	v_addc_co_u32_e32 v33, vcc, 0, v2, vcc
	v_lshlrev_b64 v[2:3], 4, v[11:12]
	v_mov_b32_e32 v8, 0xff800000
	s_waitcnt vmcnt(1)
	v_add_co_u32_e32 v0, vcc, v4, v2
	v_mov_b32_e32 v2, v59
	v_lshlrev_b64 v[11:12], 4, v[1:2]
	buffer_store_dword v0, off, s[0:3], s32 offset:236 ; 4-byte Folded Spill
	s_waitcnt vmcnt(1)
	v_addc_co_u32_e32 v0, vcc, v5, v3, vcc
	buffer_store_dword v0, off, s[0:3], s32 offset:240 ; 4-byte Folded Spill
	buffer_store_dword v36, off, s[0:3], s32 offset:164 ; 4-byte Folded Spill
	s_nop 0
	buffer_store_dword v37, off, s[0:3], s32 offset:168 ; 4-byte Folded Spill
	buffer_store_dword v38, off, s[0:3], s32 offset:172 ; 4-byte Folded Spill
	;; [unrolled: 1-line block ×4, first 2 shown]
	s_nop 0
	buffer_store_dword v45, off, s[0:3], s32 offset:120 ; 4-byte Folded Spill
	buffer_store_dword v23, off, s[0:3], s32 offset:180 ; 4-byte Folded Spill
	s_nop 0
	buffer_store_dword v24, off, s[0:3], s32 offset:184 ; 4-byte Folded Spill
	buffer_store_dword v30, off, s[0:3], s32 offset:196 ; 4-byte Folded Spill
	s_branch .LBB4_21
.LBB4_20:                               ;   in Loop: Header=BB4_21 Depth=1
	s_or_b64 exec, exec, s[18:19]
	v_add_co_u32_e32 v34, vcc, 1, v34
	v_addc_co_u32_e32 v35, vcc, 0, v35, vcc
	s_waitcnt vmcnt(0)
	v_add_co_u32_e32 v36, vcc, v36, v23
	v_addc_co_u32_e32 v37, vcc, 0, v37, vcc
	v_add_co_u32_e32 v32, vcc, v32, v23
	v_addc_co_u32_e32 v33, vcc, 0, v33, vcc
	v_cmp_ge_u64_e32 vcc, v[36:37], v[38:39]
	s_or_b64 s[40:41], vcc, s[40:41]
	s_andn2_b64 exec, exec, s[40:41]
	s_cbranch_execz .LBB4_1105
.LBB4_21:                               ; =>This Loop Header: Depth=1
                                        ;     Child Loop BB4_26 Depth 2
                                        ;     Child Loop BB4_45 Depth 2
	;; [unrolled: 1-line block ×5, first 2 shown]
                                        ;       Child Loop BB4_75 Depth 3
                                        ;       Child Loop BB4_94 Depth 3
	;; [unrolled: 1-line block ×3, first 2 shown]
                                        ;         Child Loop BB4_123 Depth 4
                                        ;       Child Loop BB4_586 Depth 3
                                        ;       Child Loop BB4_111 Depth 3
                                        ;     Child Loop BB4_601 Depth 2
                                        ;       Child Loop BB4_609 Depth 3
                                        ;     Child Loop BB4_1092 Depth 2
	buffer_load_dword v2, off, s[0:3], s32 offset:188 ; 4-byte Folded Reload
	buffer_load_dword v3, off, s[0:3], s32 offset:192 ; 4-byte Folded Reload
	s_waitcnt vmcnt(0) lgkmcnt(0)
	flat_load_dword v0, v[2:3]
	v_sub_co_u32_e32 v2, vcc, v38, v36
	v_subb_co_u32_e32 v3, vcc, v39, v37, vcc
	v_cmp_lt_u64_e32 vcc, v[23:24], v[2:3]
	v_cndmask_b32_e32 v2, v2, v23, vcc
	v_lshl_add_u32 v3, v2, 1, 14
	v_and_b32_e32 v3, 0x7fffff0, v3
	buffer_store_dword v3, off, s[0:3], s32 offset:124 ; 4-byte Folded Spill
	s_and_saveexec_b64 s[20:21], s[6:7]
	s_cbranch_execz .LBB4_37
; %bb.22:                               ;   in Loop: Header=BB4_21 Depth=1
	v_add_co_u32_e32 v17, vcc, 1, v15
	v_addc_co_u32_e32 v18, vcc, 0, v16, vcc
	v_add_co_u32_e32 v3, vcc, 8, v52
	v_addc_co_u32_e32 v4, vcc, 0, v53, vcc
	v_cmp_lt_u64_e32 vcc, v[3:4], v[17:18]
	s_and_saveexec_b64 s[72:73], vcc
	s_cbranch_execz .LBB4_34
; %bb.23:                               ;   in Loop: Header=BB4_21 Depth=1
	s_mov_b32 s28, 0
	v_cmp_eq_u32_e32 vcc, 0, v9
	s_mov_b64 s[74:75], 0
                                        ; implicit-def: $sgpr76_sgpr77
                                        ; implicit-def: $sgpr78_sgpr79
                                        ; implicit-def: $sgpr88_sgpr89
	s_branch .LBB4_26
.LBB4_24:                               ;   in Loop: Header=BB4_26 Depth=2
	s_or_b64 exec, exec, s[34:35]
	s_andn2_b64 s[18:19], s[88:89], exec
	s_and_b64 s[88:89], s[94:95], exec
	s_or_b64 s[88:89], s[18:19], s[88:89]
	s_andn2_b64 s[18:19], s[78:79], exec
	s_and_b64 s[78:79], s[92:93], exec
	s_or_b64 s[78:79], s[18:19], s[78:79]
.LBB4_25:                               ;   in Loop: Header=BB4_26 Depth=2
	s_or_b64 exec, exec, s[90:91]
	s_and_b64 s[18:19], exec, s[78:79]
	s_or_b64 s[74:75], s[18:19], s[74:75]
	s_andn2_b64 s[18:19], s[76:77], exec
	s_and_b64 s[76:77], s[88:89], exec
	s_or_b64 s[76:77], s[18:19], s[76:77]
	s_andn2_b64 exec, exec, s[74:75]
	s_cbranch_execz .LBB4_31
.LBB4_26:                               ;   Parent Loop BB4_21 Depth=1
                                        ; =>  This Inner Loop Header: Depth=2
	s_sleep 1
	s_waitcnt vmcnt(0) lgkmcnt(0)
	flat_load_dwordx2 v[52:53], v[50:51] glc
	v_mov_b32_e32 v9, 1
	s_or_b64 s[88:89], s[88:89], exec
	s_or_b64 s[78:79], s[78:79], exec
                                        ; implicit-def: $vgpr3
	s_and_saveexec_b64 s[90:91], vcc
	s_cbranch_execz .LBB4_25
; %bb.27:                               ;   in Loop: Header=BB4_26 Depth=2
	s_add_i32 s28, s28, 1
	s_cmpk_lg_i32 s28, 0x2710
	s_cselect_b64 s[30:31], -1, 0
	s_cmpk_eq_i32 s28, 0x2710
	s_mov_b64 s[92:93], -1
	s_mov_b64 s[94:95], -1
                                        ; implicit-def: $vgpr3
	s_cbranch_scc1 .LBB4_29
; %bb.28:                               ;   in Loop: Header=BB4_26 Depth=2
	v_mov_b32_e32 v9, 1
	s_and_saveexec_b64 s[34:35], s[30:31]
	s_cbranch_execz .LBB4_24
	s_branch .LBB4_30
.LBB4_29:                               ;   in Loop: Header=BB4_26 Depth=2
	s_trap 2
	s_waitcnt vmcnt(0) lgkmcnt(0)
	ds_read_b64 v[3:4], v0
	s_andn2_b64 s[30:31], s[30:31], exec
	s_mov_b32 s28, 0
	s_mov_b64 s[94:95], 0
	s_waitcnt lgkmcnt(0)
	flat_load_dword v3, v[3:4] glc
	s_waitcnt vmcnt(0) lgkmcnt(0)
	buffer_wbinvl1_vol
	v_cmp_eq_u32_e64 s[18:19], 0, v3
	s_and_b64 s[18:19], s[18:19], exec
	s_or_b64 s[30:31], s[30:31], s[18:19]
	v_mov_b32_e32 v9, 1
	s_and_saveexec_b64 s[34:35], s[30:31]
	s_cbranch_execz .LBB4_24
.LBB4_30:                               ;   in Loop: Header=BB4_26 Depth=2
	s_waitcnt vmcnt(0) lgkmcnt(0)
	v_add_co_u32_e64 v4, s[18:19], 8, v52
	v_addc_co_u32_e64 v5, s[18:19], 0, v53, s[18:19]
	v_cmp_ge_u64_e64 s[18:19], v[4:5], v[17:18]
	v_mov_b32_e32 v9, 0
	s_or_b64 s[94:95], s[94:95], exec
	s_orn2_b64 s[92:93], s[18:19], exec
	s_branch .LBB4_24
.LBB4_31:                               ;   in Loop: Header=BB4_21 Depth=1
	s_or_b64 exec, exec, s[74:75]
	s_xor_b64 s[18:19], s[76:77], -1
	s_and_saveexec_b64 s[74:75], s[18:19]
	s_xor_b64 s[18:19], exec, s[74:75]
	s_cbranch_execz .LBB4_33
; %bb.32:                               ;   in Loop: Header=BB4_21 Depth=1
	v_mov_b32_e32 v9, 1
	s_waitcnt vmcnt(0) lgkmcnt(0)
	ds_write_b32 v0, v3
	s_trap 2
.LBB4_33:                               ;   in Loop: Header=BB4_21 Depth=1
	s_or_b64 exec, exec, s[18:19]
.LBB4_34:                               ;   in Loop: Header=BB4_21 Depth=1
	s_or_b64 exec, exec, s[72:73]
	s_and_saveexec_b64 s[18:19], s[8:9]
	s_cbranch_execz .LBB4_36
; %bb.35:                               ;   in Loop: Header=BB4_21 Depth=1
	buffer_load_dword v6, off, s[0:3], s32 offset:124 ; 4-byte Folded Reload
	v_and_b32_e32 v58, 0x7ffffff8, v15
	v_and_b32_e32 v3, 7, v15
	v_mad_u64_u32 v[3:4], s[72:73], v3, 24, v[13:14]
	v_cmp_eq_u64_e32 vcc, s[46:47], v[58:59]
	v_mov_b32_e32 v5, s23
	s_waitcnt vmcnt(0)
	v_cndmask_b32_e32 v5, v6, v5, vcc
	v_ashrrev_i32_e32 v6, 31, v5
	flat_store_dwordx2 v[3:4], v[5:6] offset:8
	s_waitcnt vmcnt(0)
.LBB4_36:                               ;   in Loop: Header=BB4_21 Depth=1
	s_or_b64 exec, exec, s[18:19]
	v_mov_b32_e32 v15, v17
	v_mov_b32_e32 v16, v18
.LBB4_37:                               ;   in Loop: Header=BB4_21 Depth=1
	s_or_b64 exec, exec, s[20:21]
	s_and_saveexec_b64 s[18:19], s[10:11]
	s_cbranch_execz .LBB4_56
; %bb.38:                               ;   in Loop: Header=BB4_21 Depth=1
	s_and_saveexec_b64 s[20:21], s[42:43]
	s_xor_b64 s[20:21], exec, s[20:21]
	s_cbranch_execz .LBB4_53
; %bb.39:                               ;   in Loop: Header=BB4_21 Depth=1
	s_and_saveexec_b64 s[72:73], s[12:13]
	s_cbranch_execz .LBB4_52
; %bb.40:                               ;   in Loop: Header=BB4_21 Depth=1
	s_mov_b64 s[76:77], exec
	v_mbcnt_lo_u32_b32 v3, s76, 0
	v_mbcnt_hi_u32_b32 v3, s77, v3
	v_cmp_eq_u32_e32 vcc, 0, v3
	s_waitcnt vmcnt(0) lgkmcnt(0)
	buffer_wbinvl1_vol
	s_and_saveexec_b64 s[74:75], vcc
	s_cbranch_execz .LBB4_42
; %bb.41:                               ;   in Loop: Header=BB4_21 Depth=1
	s_bcnt1_i32_b64 s28, s[76:77]
	v_mov_b32_e32 v58, s28
	ds_add_u64 v0, v[58:59]
	s_trap 2
.LBB4_42:                               ;   in Loop: Header=BB4_21 Depth=1
	s_or_b64 exec, exec, s[74:75]
	s_trap 2
	ds_read_b64 v[3:4], v0
	s_waitcnt lgkmcnt(0)
	buffer_load_dword v5, off, s[0:3], s32 offset:128 ; 4-byte Folded Reload
	s_waitcnt vmcnt(0)
	v_add_co_u32_e32 v40, vcc, v40, v5
	v_addc_co_u32_e32 v41, vcc, 0, v41, vcc
	v_cmp_lt_u64_e32 vcc, v[3:4], v[40:41]
	s_and_saveexec_b64 s[74:75], vcc
	s_cbranch_execz .LBB4_51
; %bb.43:                               ;   in Loop: Header=BB4_21 Depth=1
	s_mov_b32 s28, 0
	s_mov_b64 s[76:77], 0
                                        ; implicit-def: $sgpr78_sgpr79
                                        ; implicit-def: $sgpr88_sgpr89
	s_branch .LBB4_45
.LBB4_44:                               ;   in Loop: Header=BB4_45 Depth=2
	s_or_b64 exec, exec, s[92:93]
	s_and_b64 s[90:91], exec, s[94:95]
	s_or_b64 s[76:77], s[90:91], s[76:77]
	s_andn2_b64 s[78:79], s[78:79], exec
	s_and_b64 s[90:91], s[88:89], exec
	s_or_b64 s[78:79], s[78:79], s[90:91]
	s_andn2_b64 exec, exec, s[76:77]
	s_cbranch_execz .LBB4_49
.LBB4_45:                               ;   Parent Loop BB4_21 Depth=1
                                        ; =>  This Inner Loop Header: Depth=2
	s_add_i32 s28, s28, 1
	s_cmpk_lg_i32 s28, 0x2710
	s_cselect_b64 s[90:91], -1, 0
	s_and_b64 vcc, exec, s[90:91]
	s_cbranch_vccz .LBB4_47
; %bb.46:                               ;   in Loop: Header=BB4_45 Depth=2
	s_mov_b64 s[94:95], -1
	s_or_b64 s[88:89], s[88:89], exec
	s_and_saveexec_b64 s[92:93], s[90:91]
	s_cbranch_execz .LBB4_44
	s_branch .LBB4_48
.LBB4_47:                               ;   in Loop: Header=BB4_45 Depth=2
	s_trap 2
	ds_read_b64 v[3:4], v0
	s_andn2_b64 s[90:91], s[90:91], exec
	s_mov_b32 s28, 0
	s_waitcnt lgkmcnt(0)
	flat_load_dword v3, v[3:4] glc
	s_waitcnt vmcnt(0) lgkmcnt(0)
	buffer_wbinvl1_vol
	v_cmp_eq_u32_e32 vcc, 0, v3
	s_and_b64 s[92:93], vcc, exec
	s_or_b64 s[90:91], s[90:91], s[92:93]
	s_mov_b64 s[94:95], -1
	s_or_b64 s[88:89], s[88:89], exec
	s_and_saveexec_b64 s[92:93], s[90:91]
	s_cbranch_execz .LBB4_44
.LBB4_48:                               ;   in Loop: Header=BB4_45 Depth=2
	s_sleep 1
	s_trap 2
	ds_read_b64 v[3:4], v0
	s_waitcnt lgkmcnt(0)
	s_andn2_b64 s[88:89], s[88:89], exec
	v_cmp_ge_u64_e32 vcc, v[3:4], v[40:41]
	s_orn2_b64 s[94:95], vcc, exec
	s_branch .LBB4_44
.LBB4_49:                               ;   in Loop: Header=BB4_21 Depth=1
	s_or_b64 exec, exec, s[76:77]
	s_and_saveexec_b64 s[76:77], s[78:79]
	s_xor_b64 s[76:77], exec, s[76:77]
	s_cbranch_execz .LBB4_51
; %bb.50:                               ;   in Loop: Header=BB4_21 Depth=1
	v_mov_b32_e32 v3, 1
	ds_write_b32 v0, v3
	s_trap 2
.LBB4_51:                               ;   in Loop: Header=BB4_21 Depth=1
	s_or_b64 exec, exec, s[74:75]
	;;#ASMSTART
	s_wakeup
	;;#ASMEND
.LBB4_52:                               ;   in Loop: Header=BB4_21 Depth=1
	s_or_b64 exec, exec, s[72:73]
.LBB4_53:                               ;   in Loop: Header=BB4_21 Depth=1
	s_andn2_saveexec_b64 s[20:21], s[20:21]
	s_cbranch_execz .LBB4_55
; %bb.54:                               ;   in Loop: Header=BB4_21 Depth=1
	s_waitcnt vmcnt(0) lgkmcnt(0)
	buffer_wbinvl1_vol
	s_barrier
.LBB4_55:                               ;   in Loop: Header=BB4_21 Depth=1
	s_or_b64 exec, exec, s[20:21]
.LBB4_56:                               ;   in Loop: Header=BB4_21 Depth=1
	s_or_b64 exec, exec, s[18:19]
	buffer_load_dword v3, off, s[0:3], s32 offset:152 ; 4-byte Folded Reload
	buffer_load_dword v27, off, s[0:3], s32 offset:60 ; 4-byte Folded Reload
	;; [unrolled: 1-line block ×3, first 2 shown]
	v_and_b32_e32 v6, 7, v21
	v_add_u32_e32 v18, 1, v21
	s_waitcnt vmcnt(0)
	v_sub_u32_e32 v42, v2, v3
	v_cmp_lt_i32_e64 s[18:19], 0, v42
	s_and_saveexec_b64 s[20:21], s[18:19]
	s_cbranch_execz .LBB4_64
; %bb.57:                               ;   in Loop: Header=BB4_21 Depth=1
	buffer_load_dword v7, off, s[0:3], s32 offset:84 ; 4-byte Folded Reload
	buffer_load_dword v4, off, s[0:3], s32 offset:88 ; 4-byte Folded Reload
	s_waitcnt lgkmcnt(0)
	v_ashrrev_i32_e32 v3, 31, v0
	v_mul_lo_u32 v2, v6, s38
	s_waitcnt vmcnt(1)
	v_mad_u64_u32 v[28:29], s[72:73], v7, v0, v[32:33]
	s_waitcnt vmcnt(0)
	v_mul_lo_u32 v4, v4, v0
	v_mul_lo_u32 v5, v7, v3
	v_ashrrev_i32_e32 v3, 31, v2
	v_lshlrev_b64 v[2:3], 4, v[2:3]
	v_mul_lo_u32 v0, v7, v0
	v_add3_u32 v29, v4, v29, v5
	buffer_load_dword v4, off, s[0:3], s32 offset:236 ; 4-byte Folded Reload
	s_mov_b64 s[72:73], 0
	v_add_lshl_u32 v0, v32, v0, 3
	v_mov_b32_e32 v7, v42
	s_waitcnt vmcnt(0)
	v_add_co_u32_e32 v2, vcc, v4, v2
	buffer_load_dword v4, off, s[0:3], s32 offset:240 ; 4-byte Folded Reload
	s_waitcnt vmcnt(0)
	v_addc_co_u32_e32 v3, vcc, v4, v3, vcc
	buffer_load_dword v4, off, s[0:3], s32 offset:60 ; 4-byte Folded Reload
	buffer_load_dword v5, off, s[0:3], s32 offset:64 ; 4-byte Folded Reload
	s_waitcnt vmcnt(1)
	v_mov_b32_e32 v27, v4
	s_branch .LBB4_59
.LBB4_58:                               ;   in Loop: Header=BB4_59 Depth=2
	s_or_b64 exec, exec, s[74:75]
	v_add_co_u32_e32 v28, vcc, v28, v26
	v_sub_u32_e32 v7, v7, v26
	v_addc_co_u32_e32 v29, vcc, 0, v29, vcc
	s_waitcnt vmcnt(0)
	v_alignbit_b32 v17, v20, v10, v0
	v_alignbit_b32 v19, v19, v20, v0
	v_mov_b32_e32 v20, v18
	v_cmp_gt_i32_e32 vcc, 1, v7
	global_store_dwordx4 v[2:3], v[17:20], off
	s_or_b64 s[72:73], vcc, s[72:73]
	v_add_co_u32_e32 v2, vcc, v2, v11
	v_add_u32_e32 v27, v27, v1
	v_add_u32_e32 v0, v0, v30
	v_addc_co_u32_e32 v3, vcc, v3, v12, vcc
	s_andn2_b64 exec, exec, s[72:73]
	s_cbranch_execz .LBB4_63
.LBB4_59:                               ;   Parent Loop BB4_21 Depth=1
                                        ; =>  This Inner Loop Header: Depth=2
	v_and_b32_e32 v4, -4, v28
	s_waitcnt vmcnt(0)
	v_mov_b32_e32 v5, v29
	global_load_dword v10, v[4:5], off glc slc
	v_min_u32_e32 v17, 8, v7
	v_and_b32_e32 v19, 3, v28
	v_add_u32_e32 v58, v19, v17
	v_cmp_lt_u32_e32 vcc, 4, v58
	v_mov_b32_e32 v19, 0
	v_mov_b32_e32 v20, 0
	s_and_saveexec_b64 s[74:75], vcc
	s_cbranch_execz .LBB4_61
; %bb.60:                               ;   in Loop: Header=BB4_59 Depth=2
	global_load_dword v20, v[4:5], off offset:4 glc slc
.LBB4_61:                               ;   in Loop: Header=BB4_59 Depth=2
	s_or_b64 exec, exec, s[74:75]
	v_cmp_lt_u64_e32 vcc, 8, v[58:59]
	s_and_saveexec_b64 s[74:75], vcc
	s_cbranch_execz .LBB4_58
; %bb.62:                               ;   in Loop: Header=BB4_59 Depth=2
	global_load_dword v19, v[4:5], off offset:8 glc slc
	s_branch .LBB4_58
.LBB4_63:                               ;   in Loop: Header=BB4_21 Depth=1
	s_or_b64 exec, exec, s[72:73]
.LBB4_64:                               ;   in Loop: Header=BB4_21 Depth=1
	s_or_b64 exec, exec, s[20:21]
	v_and_b32_e32 v58, 0x7ffffff8, v21
	v_cmp_eq_u64_e32 vcc, s[46:47], v[58:59]
	v_cmp_gt_i32_e64 s[20:21], s38, v27
	s_and_b64 s[20:21], vcc, s[20:21]
	s_and_saveexec_b64 s[72:73], s[20:21]
	s_cbranch_execz .LBB4_67
; %bb.65:                               ;   in Loop: Header=BB4_21 Depth=1
	v_mul_lo_u32 v2, v6, s38
	v_ashrrev_i32_e32 v28, 31, v27
	v_lshlrev_b64 v[4:5], 4, v[27:28]
	v_mov_b32_e32 v17, v59
	v_ashrrev_i32_e32 v3, 31, v2
	v_lshlrev_b64 v[2:3], 4, v[2:3]
	s_mov_b64 s[74:75], 0
	s_waitcnt lgkmcnt(0)
	v_add_co_u32_e32 v0, vcc, v4, v2
	v_addc_co_u32_e32 v3, vcc, v5, v3, vcc
	buffer_load_dword v4, off, s[0:3], s32 offset:68 ; 4-byte Folded Reload
	buffer_load_dword v5, off, s[0:3], s32 offset:72 ; 4-byte Folded Reload
	s_waitcnt vmcnt(1)
	v_add_co_u32_e32 v2, vcc, v4, v0
	s_waitcnt vmcnt(0)
	v_addc_co_u32_e32 v3, vcc, v5, v3, vcc
.LBB4_66:                               ;   Parent Loop BB4_21 Depth=1
                                        ; =>  This Inner Loop Header: Depth=2
	v_mov_b32_e32 v19, v17
	v_mov_b32_e32 v20, v18
	v_add_u32_e32 v27, v27, v1
	global_store_dwordx4 v[2:3], v[17:20], off
	v_add_co_u32_e32 v2, vcc, v2, v11
	v_cmp_le_i32_e64 s[20:21], s38, v27
	s_or_b64 s[74:75], s[20:21], s[74:75]
	v_addc_co_u32_e32 v3, vcc, v3, v12, vcc
	s_andn2_b64 exec, exec, s[74:75]
	s_cbranch_execnz .LBB4_66
.LBB4_67:                               ;   in Loop: Header=BB4_21 Depth=1
	s_or_b64 exec, exec, s[72:73]
	buffer_store_dword v32, off, s[0:3], s32 offset:132 ; 4-byte Folded Spill
	s_nop 0
	buffer_store_dword v33, off, s[0:3], s32 offset:136 ; 4-byte Folded Spill
	buffer_load_dword v2, off, s[0:3], s32 offset:156 ; 4-byte Folded Reload
	buffer_load_dword v3, off, s[0:3], s32 offset:160 ; 4-byte Folded Reload
	v_add_co_u32_e64 v46, s[20:21], 1, v21
	v_addc_co_u32_e64 v47, s[20:21], 0, v22, s[20:21]
	s_waitcnt vmcnt(0)
	v_add_co_u32_e32 v7, vcc, v36, v2
	buffer_store_dword v36, off, s[0:3], s32 offset:140 ; 4-byte Folded Spill
	s_nop 0
	buffer_store_dword v37, off, s[0:3], s32 offset:144 ; 4-byte Folded Spill
	v_addc_co_u32_e32 v2, vcc, v37, v3, vcc
	s_andn2_b64 vcc, exec, s[44:45]
	buffer_store_dword v2, off, s[0:3], s32 offset:148 ; 4-byte Folded Spill
	s_cbranch_vccnz .LBB4_597
; %bb.68:                               ;   in Loop: Header=BB4_21 Depth=1
	s_waitcnt lgkmcnt(0)
	buffer_load_dword v0, off, s[0:3], s32 offset:220 ; 4-byte Folded Reload
	s_mov_b32 s55, 2
	buffer_store_dword v7, off, s[0:3], s32 offset:200 ; 4-byte Folded Spill
	s_waitcnt vmcnt(1)
	v_add_co_u32_e32 v3, vcc, v0, v7
	buffer_load_dword v0, off, s[0:3], s32 offset:224 ; 4-byte Folded Reload
	v_add_u16_e32 v7, 1, v21
	s_waitcnt vmcnt(0)
	v_addc_co_u32_e32 v4, vcc, v0, v2, vcc
	buffer_store_dword v3, off, s[0:3], s32 offset:108 ; 4-byte Folded Spill
	s_nop 0
	buffer_store_dword v4, off, s[0:3], s32 offset:112 ; 4-byte Folded Spill
	s_branch .LBB4_70
.LBB4_69:                               ;   in Loop: Header=BB4_70 Depth=2
	s_or_b64 exec, exec, s[72:73]
	v_add_co_u32_e32 v34, vcc, 1, v34
	v_addc_co_u32_e32 v35, vcc, 0, v35, vcc
	s_add_i32 s55, s55, 1
	v_add_co_u32_e32 v46, vcc, 1, v46
	v_addc_co_u32_e32 v47, vcc, 0, v47, vcc
	s_cmp_eq_u32 s55, s22
	v_add_u16_e32 v7, 1, v7
	s_cbranch_scc1 .LBB4_598
.LBB4_70:                               ;   Parent Loop BB4_21 Depth=1
                                        ; =>  This Loop Header: Depth=2
                                        ;       Child Loop BB4_75 Depth 3
                                        ;       Child Loop BB4_94 Depth 3
	;; [unrolled: 1-line block ×3, first 2 shown]
                                        ;         Child Loop BB4_123 Depth 4
                                        ;       Child Loop BB4_586 Depth 3
                                        ;       Child Loop BB4_111 Depth 3
	s_sub_i32 s28, s22, s55
	s_lshl_b64 s[20:21], s[28:29], 2
	s_waitcnt lgkmcnt(0)
	v_mov_b32_e32 v0, s21
	v_add_co_u32_e32 v2, vcc, s20, v44
	v_addc_co_u32_e32 v3, vcc, v45, v0, vcc
	flat_load_dword v0, v[2:3]
	s_and_saveexec_b64 s[72:73], s[6:7]
	s_cbranch_execz .LBB4_86
; %bb.71:                               ;   in Loop: Header=BB4_70 Depth=2
	v_add_co_u32_e32 v17, vcc, 1, v15
	v_addc_co_u32_e32 v18, vcc, 0, v16, vcc
	v_add_co_u32_e32 v2, vcc, 8, v52
	v_addc_co_u32_e32 v3, vcc, 0, v53, vcc
	v_cmp_lt_u64_e32 vcc, v[2:3], v[17:18]
	s_and_saveexec_b64 s[74:75], vcc
	s_cbranch_execz .LBB4_83
; %bb.72:                               ;   in Loop: Header=BB4_70 Depth=2
	s_mov_b32 s28, 0
	v_cmp_eq_u32_e32 vcc, 0, v9
	s_mov_b64 s[76:77], 0
                                        ; implicit-def: $sgpr78_sgpr79
                                        ; implicit-def: $sgpr88_sgpr89
                                        ; implicit-def: $sgpr90_sgpr91
	s_branch .LBB4_75
.LBB4_73:                               ;   in Loop: Header=BB4_75 Depth=3
	s_or_b64 exec, exec, s[36:37]
	s_andn2_b64 s[20:21], s[90:91], exec
	s_and_b64 s[90:91], s[30:31], exec
	s_or_b64 s[90:91], s[20:21], s[90:91]
	s_andn2_b64 s[20:21], s[88:89], exec
	s_and_b64 s[88:89], s[94:95], exec
	s_or_b64 s[88:89], s[20:21], s[88:89]
.LBB4_74:                               ;   in Loop: Header=BB4_75 Depth=3
	s_or_b64 exec, exec, s[92:93]
	s_and_b64 s[20:21], exec, s[88:89]
	s_or_b64 s[76:77], s[20:21], s[76:77]
	s_andn2_b64 s[20:21], s[78:79], exec
	s_and_b64 s[78:79], s[90:91], exec
	s_or_b64 s[78:79], s[20:21], s[78:79]
	s_andn2_b64 exec, exec, s[76:77]
	s_cbranch_execz .LBB4_80
.LBB4_75:                               ;   Parent Loop BB4_21 Depth=1
                                        ;     Parent Loop BB4_70 Depth=2
                                        ; =>    This Inner Loop Header: Depth=3
	s_sleep 1
	s_waitcnt vmcnt(0) lgkmcnt(0)
	flat_load_dwordx2 v[52:53], v[50:51] glc
	v_mov_b32_e32 v9, 1
	s_or_b64 s[90:91], s[90:91], exec
	s_or_b64 s[88:89], s[88:89], exec
                                        ; implicit-def: $vgpr2
	s_and_saveexec_b64 s[92:93], vcc
	s_cbranch_execz .LBB4_74
; %bb.76:                               ;   in Loop: Header=BB4_75 Depth=3
	s_add_i32 s28, s28, 1
	s_cmpk_lg_i32 s28, 0x2710
	s_cselect_b64 s[34:35], -1, 0
	s_cmpk_eq_i32 s28, 0x2710
	s_mov_b64 s[94:95], -1
	s_mov_b64 s[30:31], -1
                                        ; implicit-def: $vgpr2
	s_cbranch_scc1 .LBB4_78
; %bb.77:                               ;   in Loop: Header=BB4_75 Depth=3
	v_mov_b32_e32 v9, 1
	s_and_saveexec_b64 s[36:37], s[34:35]
	s_cbranch_execz .LBB4_73
	s_branch .LBB4_79
.LBB4_78:                               ;   in Loop: Header=BB4_75 Depth=3
	s_trap 2
	s_waitcnt vmcnt(0) lgkmcnt(0)
	ds_read_b64 v[2:3], v0
	s_andn2_b64 s[34:35], s[34:35], exec
	s_mov_b32 s28, 0
	s_mov_b64 s[30:31], 0
	s_waitcnt lgkmcnt(0)
	flat_load_dword v2, v[2:3] glc
	s_waitcnt vmcnt(0) lgkmcnt(0)
	buffer_wbinvl1_vol
	v_cmp_eq_u32_e64 s[20:21], 0, v2
	s_and_b64 s[20:21], s[20:21], exec
	s_or_b64 s[34:35], s[34:35], s[20:21]
	v_mov_b32_e32 v9, 1
	s_and_saveexec_b64 s[36:37], s[34:35]
	s_cbranch_execz .LBB4_73
.LBB4_79:                               ;   in Loop: Header=BB4_75 Depth=3
	s_waitcnt vmcnt(0) lgkmcnt(0)
	v_add_co_u32_e64 v3, s[20:21], 8, v52
	v_addc_co_u32_e64 v4, s[20:21], 0, v53, s[20:21]
	v_cmp_ge_u64_e64 s[20:21], v[3:4], v[17:18]
	v_mov_b32_e32 v9, 0
	s_or_b64 s[30:31], s[30:31], exec
	s_orn2_b64 s[94:95], s[20:21], exec
	s_branch .LBB4_73
.LBB4_80:                               ;   in Loop: Header=BB4_70 Depth=2
	s_or_b64 exec, exec, s[76:77]
	s_xor_b64 s[20:21], s[78:79], -1
	s_and_saveexec_b64 s[76:77], s[20:21]
	s_xor_b64 s[20:21], exec, s[76:77]
	s_cbranch_execz .LBB4_82
; %bb.81:                               ;   in Loop: Header=BB4_70 Depth=2
	v_mov_b32_e32 v9, 1
	s_waitcnt vmcnt(0) lgkmcnt(0)
	ds_write_b32 v0, v2
	s_trap 2
.LBB4_82:                               ;   in Loop: Header=BB4_70 Depth=2
	s_or_b64 exec, exec, s[20:21]
.LBB4_83:                               ;   in Loop: Header=BB4_70 Depth=2
	s_or_b64 exec, exec, s[74:75]
	s_and_saveexec_b64 s[20:21], s[8:9]
	s_cbranch_execz .LBB4_85
; %bb.84:                               ;   in Loop: Header=BB4_70 Depth=2
	buffer_load_dword v5, off, s[0:3], s32 offset:124 ; 4-byte Folded Reload
	v_and_b32_e32 v58, 0x7ffffff8, v15
	v_and_b32_e32 v2, 7, v15
	v_mad_u64_u32 v[2:3], s[74:75], v2, 24, v[13:14]
	v_cmp_eq_u64_e32 vcc, s[46:47], v[58:59]
	v_mov_b32_e32 v4, s23
	s_waitcnt vmcnt(0)
	v_cndmask_b32_e32 v4, v5, v4, vcc
	v_ashrrev_i32_e32 v5, 31, v4
	flat_store_dwordx2 v[2:3], v[4:5] offset:8
	s_waitcnt vmcnt(0)
.LBB4_85:                               ;   in Loop: Header=BB4_70 Depth=2
	s_or_b64 exec, exec, s[20:21]
	v_mov_b32_e32 v15, v17
	v_mov_b32_e32 v16, v18
.LBB4_86:                               ;   in Loop: Header=BB4_70 Depth=2
	s_or_b64 exec, exec, s[72:73]
	s_and_saveexec_b64 s[20:21], s[10:11]
	s_cbranch_execz .LBB4_105
; %bb.87:                               ;   in Loop: Header=BB4_70 Depth=2
	s_and_saveexec_b64 s[72:73], s[42:43]
	s_xor_b64 s[72:73], exec, s[72:73]
	s_cbranch_execz .LBB4_102
; %bb.88:                               ;   in Loop: Header=BB4_70 Depth=2
	s_and_saveexec_b64 s[74:75], s[12:13]
	s_cbranch_execz .LBB4_101
; %bb.89:                               ;   in Loop: Header=BB4_70 Depth=2
	s_mov_b64 s[78:79], exec
	v_mbcnt_lo_u32_b32 v2, s78, 0
	v_mbcnt_hi_u32_b32 v2, s79, v2
	v_cmp_eq_u32_e32 vcc, 0, v2
	s_waitcnt vmcnt(0) lgkmcnt(0)
	buffer_wbinvl1_vol
	s_and_saveexec_b64 s[76:77], vcc
	s_cbranch_execz .LBB4_91
; %bb.90:                               ;   in Loop: Header=BB4_70 Depth=2
	s_bcnt1_i32_b64 s28, s[78:79]
	v_mov_b32_e32 v58, s28
	ds_add_u64 v0, v[58:59]
	s_trap 2
.LBB4_91:                               ;   in Loop: Header=BB4_70 Depth=2
	s_or_b64 exec, exec, s[76:77]
	s_trap 2
	ds_read_b64 v[2:3], v0
	s_waitcnt lgkmcnt(0)
	buffer_load_dword v4, off, s[0:3], s32 offset:128 ; 4-byte Folded Reload
	s_waitcnt vmcnt(0)
	v_add_co_u32_e32 v40, vcc, v40, v4
	v_addc_co_u32_e32 v41, vcc, 0, v41, vcc
	v_cmp_lt_u64_e32 vcc, v[2:3], v[40:41]
	s_and_saveexec_b64 s[76:77], vcc
	s_cbranch_execz .LBB4_100
; %bb.92:                               ;   in Loop: Header=BB4_70 Depth=2
	s_mov_b32 s28, 0
	s_mov_b64 s[78:79], 0
                                        ; implicit-def: $sgpr88_sgpr89
                                        ; implicit-def: $sgpr90_sgpr91
	s_branch .LBB4_94
.LBB4_93:                               ;   in Loop: Header=BB4_94 Depth=3
	s_or_b64 exec, exec, s[94:95]
	s_and_b64 s[92:93], exec, vcc
	s_or_b64 s[78:79], s[92:93], s[78:79]
	s_andn2_b64 s[88:89], s[88:89], exec
	s_and_b64 s[92:93], s[90:91], exec
	s_or_b64 s[88:89], s[88:89], s[92:93]
	s_andn2_b64 exec, exec, s[78:79]
	s_cbranch_execz .LBB4_98
.LBB4_94:                               ;   Parent Loop BB4_21 Depth=1
                                        ;     Parent Loop BB4_70 Depth=2
                                        ; =>    This Inner Loop Header: Depth=3
	s_add_i32 s28, s28, 1
	s_cmpk_lg_i32 s28, 0x2710
	s_cselect_b64 s[92:93], -1, 0
	s_and_b64 vcc, exec, s[92:93]
	s_cbranch_vccz .LBB4_96
; %bb.95:                               ;   in Loop: Header=BB4_94 Depth=3
	s_mov_b64 vcc, -1
	s_or_b64 s[90:91], s[90:91], exec
	s_and_saveexec_b64 s[94:95], s[92:93]
	s_cbranch_execz .LBB4_93
	s_branch .LBB4_97
.LBB4_96:                               ;   in Loop: Header=BB4_94 Depth=3
	s_trap 2
	ds_read_b64 v[2:3], v0
	s_andn2_b64 s[92:93], s[92:93], exec
	s_mov_b32 s28, 0
	s_waitcnt lgkmcnt(0)
	flat_load_dword v2, v[2:3] glc
	s_waitcnt vmcnt(0) lgkmcnt(0)
	buffer_wbinvl1_vol
	v_cmp_eq_u32_e32 vcc, 0, v2
	s_and_b64 s[94:95], vcc, exec
	s_or_b64 s[92:93], s[92:93], s[94:95]
	s_mov_b64 vcc, -1
	s_or_b64 s[90:91], s[90:91], exec
	s_and_saveexec_b64 s[94:95], s[92:93]
	s_cbranch_execz .LBB4_93
.LBB4_97:                               ;   in Loop: Header=BB4_94 Depth=3
	s_sleep 1
	s_trap 2
	ds_read_b64 v[2:3], v0
	s_waitcnt lgkmcnt(0)
	s_andn2_b64 s[90:91], s[90:91], exec
	v_cmp_ge_u64_e32 vcc, v[2:3], v[40:41]
	s_orn2_b64 vcc, vcc, exec
	s_branch .LBB4_93
.LBB4_98:                               ;   in Loop: Header=BB4_70 Depth=2
	s_or_b64 exec, exec, s[78:79]
	s_and_saveexec_b64 s[78:79], s[88:89]
	s_xor_b64 s[78:79], exec, s[78:79]
	s_cbranch_execz .LBB4_100
; %bb.99:                               ;   in Loop: Header=BB4_70 Depth=2
	v_mov_b32_e32 v2, 1
	ds_write_b32 v0, v2
	s_trap 2
.LBB4_100:                              ;   in Loop: Header=BB4_70 Depth=2
	s_or_b64 exec, exec, s[76:77]
	;;#ASMSTART
	s_wakeup
	;;#ASMEND
.LBB4_101:                              ;   in Loop: Header=BB4_70 Depth=2
	s_or_b64 exec, exec, s[74:75]
.LBB4_102:                              ;   in Loop: Header=BB4_70 Depth=2
	s_andn2_saveexec_b64 s[72:73], s[72:73]
	s_cbranch_execz .LBB4_104
; %bb.103:                              ;   in Loop: Header=BB4_70 Depth=2
	s_waitcnt vmcnt(0) lgkmcnt(0)
	buffer_wbinvl1_vol
	s_barrier
.LBB4_104:                              ;   in Loop: Header=BB4_70 Depth=2
	s_or_b64 exec, exec, s[72:73]
.LBB4_105:                              ;   in Loop: Header=BB4_70 Depth=2
	s_or_b64 exec, exec, s[20:21]
	buffer_load_dword v4, off, s[0:3], s32 offset:60 ; 4-byte Folded Reload
	buffer_load_dword v5, off, s[0:3], s32 offset:64 ; 4-byte Folded Reload
	v_add_u32_e32 v18, 1, v46
	s_and_saveexec_b64 s[72:73], s[18:19]
	s_cbranch_execnz .LBB4_112
; %bb.106:                              ;   in Loop: Header=BB4_70 Depth=2
	s_or_b64 exec, exec, s[72:73]
	s_and_saveexec_b64 s[20:21], s[10:11]
	s_cbranch_execnz .LBB4_579
.LBB4_107:                              ;   in Loop: Header=BB4_70 Depth=2
	s_or_b64 exec, exec, s[20:21]
	s_and_saveexec_b64 s[20:21], s[16:17]
	s_cbranch_execz .LBB4_109
.LBB4_108:                              ;   in Loop: Header=BB4_70 Depth=2
	buffer_load_dword v2, off, s[0:3], s32 offset:92 ; 4-byte Folded Reload
	buffer_load_dword v3, off, s[0:3], s32 offset:96 ; 4-byte Folded Reload
	s_waitcnt vmcnt(0)
	v_add_co_u32_e32 v60, vcc, 1, v60
	v_addc_co_u32_e32 v61, vcc, 0, v61, vcc
	flat_store_dwordx2 v[2:3], v[60:61]
.LBB4_109:                              ;   in Loop: Header=BB4_70 Depth=2
	s_or_b64 exec, exec, s[20:21]
	v_and_b32_e32 v58, 0x7ffffff8, v46
	v_cmp_eq_u64_e32 vcc, s[46:47], v[58:59]
	s_waitcnt vmcnt(0)
	v_cmp_gt_i32_e64 s[20:21], s38, v4
	s_and_b64 s[20:21], vcc, s[20:21]
	s_and_saveexec_b64 s[72:73], s[20:21]
	s_cbranch_execz .LBB4_69
; %bb.110:                              ;   in Loop: Header=BB4_70 Depth=2
	s_waitcnt lgkmcnt(0)
	v_and_b32_e32 v0, 7, v7
	v_mul_lo_u32 v2, s38, v0
	v_ashrrev_i32_e32 v5, 31, v4
	v_lshlrev_b64 v[5:6], 4, v[4:5]
	v_mov_b32_e32 v17, v59
	v_ashrrev_i32_e32 v3, 31, v2
	v_lshlrev_b64 v[2:3], 4, v[2:3]
	s_mov_b64 s[74:75], 0
	v_add_co_u32_e32 v0, vcc, v5, v2
	v_addc_co_u32_e32 v3, vcc, v6, v3, vcc
	buffer_load_dword v5, off, s[0:3], s32 offset:68 ; 4-byte Folded Reload
	buffer_load_dword v6, off, s[0:3], s32 offset:72 ; 4-byte Folded Reload
	s_waitcnt vmcnt(1)
	v_add_co_u32_e32 v2, vcc, v5, v0
	s_waitcnt vmcnt(0)
	v_addc_co_u32_e32 v3, vcc, v6, v3, vcc
.LBB4_111:                              ;   Parent Loop BB4_21 Depth=1
                                        ;     Parent Loop BB4_70 Depth=2
                                        ; =>    This Inner Loop Header: Depth=3
	v_mov_b32_e32 v19, v17
	v_mov_b32_e32 v20, v18
	v_add_u32_e32 v4, v4, v1
	global_store_dwordx4 v[2:3], v[17:20], off
	v_add_co_u32_e32 v2, vcc, v2, v11
	v_cmp_le_i32_e64 s[20:21], s38, v4
	s_or_b64 s[74:75], s[20:21], s[74:75]
	v_addc_co_u32_e32 v3, vcc, v3, v12, vcc
	s_andn2_b64 exec, exec, s[74:75]
	s_cbranch_execnz .LBB4_111
	s_branch .LBB4_69
.LBB4_112:                              ;   in Loop: Header=BB4_70 Depth=2
	buffer_store_dword v60, off, s[0:3], s32 offset:76 ; 4-byte Folded Spill
	s_nop 0
	buffer_store_dword v61, off, s[0:3], s32 offset:80 ; 4-byte Folded Spill
	buffer_load_dword v3, off, s[0:3], s32 offset:84 ; 4-byte Folded Reload
	buffer_load_dword v4, off, s[0:3], s32 offset:108 ; 4-byte Folded Reload
	;; [unrolled: 1-line block ×3, first 2 shown]
	s_waitcnt vmcnt(0) lgkmcnt(0)
	v_ashrrev_i32_e32 v2, 31, v0
	v_add_u32_e32 v44, 1, v34
	s_mov_b64 s[74:75], 0
	v_mov_b32_e32 v10, v42
	v_mad_u64_u32 v[60:61], s[20:21], v3, v0, v[4:5]
	buffer_load_dword v4, off, s[0:3], s32 offset:88 ; 4-byte Folded Reload
	buffer_load_dword v5, off, s[0:3], s32 offset:100 ; 4-byte Folded Reload
	;; [unrolled: 1-line block ×3, first 2 shown]
	v_mul_lo_u32 v3, v3, v2
	v_and_b32_e32 v2, 7, v34
	v_mul_lo_u32 v2, v2, s38
	s_waitcnt vmcnt(2)
	v_mul_lo_u32 v0, v4, v0
	v_add3_u32 v61, v0, v61, v3
	v_and_b32_e32 v0, 7, v46
	v_mul_lo_u32 v4, v0, s38
	v_ashrrev_i32_e32 v3, 31, v2
	v_lshlrev_b64 v[2:3], 4, v[2:3]
	s_waitcnt vmcnt(1)
	v_add_co_u32_e32 v32, vcc, v5, v2
	v_ashrrev_i32_e32 v5, 31, v4
	s_waitcnt vmcnt(0)
	v_addc_co_u32_e32 v33, vcc, v6, v3, vcc
	v_lshlrev_b64 v[2:3], 4, v[4:5]
	buffer_load_dword v4, off, s[0:3], s32 offset:68 ; 4-byte Folded Reload
	buffer_load_dword v5, off, s[0:3], s32 offset:72 ; 4-byte Folded Reload
	s_waitcnt vmcnt(1)
	v_add_co_u32_e32 v45, vcc, v4, v2
	s_waitcnt vmcnt(0)
	v_addc_co_u32_e32 v62, vcc, v5, v3, vcc
	buffer_load_dword v4, off, s[0:3], s32 offset:60 ; 4-byte Folded Reload
	buffer_load_dword v5, off, s[0:3], s32 offset:64 ; 4-byte Folded Reload
	s_branch .LBB4_115
.LBB4_113:                              ;   in Loop: Header=BB4_115 Depth=3
	s_or_b64 exec, exec, s[76:77]
.LBB4_114:                              ;   in Loop: Header=BB4_115 Depth=3
	s_or_b64 exec, exec, s[20:21]
	v_add_co_u32_e32 v60, vcc, v60, v26
	v_lshlrev_b32_e32 v0, 8, v57
	v_lshlrev_b32_e32 v2, 16, v23
	v_addc_co_u32_e32 v61, vcc, 0, v61, vcc
	v_or3_b32 v0, v0, v56, v2
	v_lshlrev_b32_e32 v2, 8, v19
	v_lshlrev_b32_e32 v6, 24, v3
	;; [unrolled: 1-line block ×3, first 2 shown]
	v_or3_b32 v19, v2, v22, v3
	v_add_co_u32_e32 v2, vcc, v45, v29
	v_addc_co_u32_e32 v3, vcc, v62, v30, vcc
	v_sub_u32_e32 v10, v10, v26
	v_lshlrev_b32_e32 v5, 24, v37
	v_cmp_gt_i32_e32 vcc, 1, v10
	v_or3_b32 v17, v0, v5, 0
	v_or3_b32 v19, v19, v6, 0
	v_mov_b32_e32 v20, v18
	s_or_b64 s[74:75], vcc, s[74:75]
	v_add_u32_e32 v4, v4, v1
	global_store_dwordx4 v[2:3], v[17:20], off
	s_andn2_b64 exec, exec, s[74:75]
	s_cbranch_execz .LBB4_578
.LBB4_115:                              ;   Parent Loop BB4_21 Depth=1
                                        ;     Parent Loop BB4_70 Depth=2
                                        ; =>    This Loop Header: Depth=3
                                        ;         Child Loop BB4_123 Depth 4
	v_and_b32_e32 v2, -4, v60
	v_mov_b32_e32 v3, v61
	global_load_dword v0, v[2:3], off glc slc
	s_waitcnt vmcnt(1)
	v_min_u32_e32 v5, 8, v10
	v_and_b32_e32 v6, 3, v60
	v_add_u32_e32 v58, v6, v5
	v_cmp_lt_u32_e32 vcc, 4, v58
	v_mov_b32_e32 v24, 0
	v_mov_b32_e32 v36, 0
	s_and_saveexec_b64 s[20:21], vcc
	s_cbranch_execz .LBB4_117
; %bb.116:                              ;   in Loop: Header=BB4_115 Depth=3
	global_load_dword v36, v[2:3], off offset:4 glc slc
.LBB4_117:                              ;   in Loop: Header=BB4_115 Depth=3
	s_or_b64 exec, exec, s[20:21]
	v_cmp_lt_u64_e32 vcc, 8, v[58:59]
	s_and_saveexec_b64 s[20:21], vcc
	s_cbranch_execz .LBB4_119
; %bb.118:                              ;   in Loop: Header=BB4_115 Depth=3
	global_load_dword v24, v[2:3], off offset:8 glc slc
.LBB4_119:                              ;   in Loop: Header=BB4_115 Depth=3
	s_or_b64 exec, exec, s[20:21]
	v_mov_b32_e32 v5, v59
	v_lshlrev_b64 v[29:30], 4, v[4:5]
	v_add_co_u32_e32 v27, vcc, v32, v29
	v_addc_co_u32_e32 v28, vcc, v33, v30, vcc
	global_load_dwordx4 v[19:22], v[27:28], off glc slc
	v_cmp_eq_u32_e32 vcc, 0, v9
	v_mov_b32_e32 v9, 1
	s_and_saveexec_b64 s[76:77], vcc
	s_cbranch_execz .LBB4_131
; %bb.120:                              ;   in Loop: Header=BB4_115 Depth=3
	s_waitcnt vmcnt(0)
	v_cmp_ne_u32_e32 vcc, v44, v20
	v_cmp_ne_u32_e64 s[20:21], v44, v22
	s_or_b64 s[20:21], vcc, s[20:21]
	v_mov_b32_e32 v9, 0
	s_and_saveexec_b64 s[78:79], s[20:21]
	s_cbranch_execz .LBB4_130
; %bb.121:                              ;   in Loop: Header=BB4_115 Depth=3
	s_mov_b32 s28, 1
	s_mov_b64 s[90:91], 0
                                        ; implicit-def: $sgpr88_sgpr89
                                        ; implicit-def: $sgpr92_sgpr93
	s_branch .LBB4_123
.LBB4_122:                              ;   in Loop: Header=BB4_123 Depth=4
	s_or_b64 exec, exec, s[30:31]
	s_and_b64 s[20:21], exec, s[20:21]
	s_or_b64 s[90:91], s[20:21], s[90:91]
	s_andn2_b64 s[20:21], s[88:89], exec
	s_and_b64 s[88:89], s[92:93], exec
	s_or_b64 s[88:89], s[20:21], s[88:89]
	s_andn2_b64 exec, exec, s[90:91]
	s_cbranch_execz .LBB4_127
.LBB4_123:                              ;   Parent Loop BB4_21 Depth=1
                                        ;     Parent Loop BB4_70 Depth=2
                                        ;       Parent Loop BB4_115 Depth=3
                                        ; =>      This Inner Loop Header: Depth=4
	global_load_dwordx4 v[19:22], v[27:28], off glc slc
	s_add_i32 s28, s28, 1
	s_mov_b64 s[20:21], -1
	s_cmpk_lg_i32 s28, 0x2710
	s_mov_b64 s[94:95], -1
                                        ; implicit-def: $vgpr2
	s_cbranch_scc0 .LBB4_125
; %bb.124:                              ;   in Loop: Header=BB4_123 Depth=4
	s_or_b64 s[92:93], s[92:93], exec
	s_and_saveexec_b64 s[30:31], s[94:95]
	s_cbranch_execz .LBB4_122
	s_branch .LBB4_126
.LBB4_125:                              ;   in Loop: Header=BB4_123 Depth=4
	s_trap 2
	ds_read_b64 v[2:3], v0
	s_mov_b32 s28, 0
	s_waitcnt vmcnt(0) lgkmcnt(0)
	flat_load_dword v2, v[2:3] glc
	s_waitcnt vmcnt(0) lgkmcnt(0)
	buffer_wbinvl1_vol
	v_cmp_eq_u32_e32 vcc, 0, v2
	s_orn2_b64 s[94:95], vcc, exec
	s_or_b64 s[92:93], s[92:93], exec
	s_and_saveexec_b64 s[30:31], s[94:95]
	s_cbranch_execz .LBB4_122
.LBB4_126:                              ;   in Loop: Header=BB4_123 Depth=4
	s_waitcnt vmcnt(0)
	v_cmp_eq_u32_e32 vcc, v44, v20
	v_cmp_eq_u32_e64 s[20:21], v44, v22
	s_and_b64 s[20:21], vcc, s[20:21]
	s_andn2_b64 s[92:93], s[92:93], exec
	s_orn2_b64 s[20:21], s[20:21], exec
	s_branch .LBB4_122
.LBB4_127:                              ;   in Loop: Header=BB4_115 Depth=3
	s_or_b64 exec, exec, s[90:91]
	v_mov_b32_e32 v9, 0
	s_and_saveexec_b64 s[20:21], s[88:89]
	s_xor_b64 s[20:21], exec, s[20:21]
	s_cbranch_execz .LBB4_129
; %bb.128:                              ;   in Loop: Header=BB4_115 Depth=3
	v_mov_b32_e32 v9, 1
	ds_write_b32 v0, v2
	s_trap 2
.LBB4_129:                              ;   in Loop: Header=BB4_115 Depth=3
	s_or_b64 exec, exec, s[20:21]
.LBB4_130:                              ;   in Loop: Header=BB4_115 Depth=3
	s_or_b64 exec, exec, s[78:79]
.LBB4_131:                              ;   in Loop: Header=BB4_115 Depth=3
	s_or_b64 exec, exec, s[76:77]
	v_lshlrev_b32_e32 v38, 3, v60
	s_waitcnt vmcnt(1)
	v_alignbit_b32 v58, v36, v0, v38
	s_waitcnt vmcnt(0)
	v_cmp_ne_u16_sdwa s[20:21], v19, v59 src0_sel:BYTE_0 src1_sel:DWORD
                                        ; implicit-def: $vgpr5
	s_and_saveexec_b64 s[76:77], s[14:15]
	s_xor_b64 s[76:77], exec, s[76:77]
	s_cbranch_execz .LBB4_149
; %bb.132:                              ;   in Loop: Header=BB4_115 Depth=3
	v_mov_b32_e32 v2, 0
	v_mov_b32_e32 v0, 0
	s_and_saveexec_b64 s[78:79], s[20:21]
	s_cbranch_execz .LBB4_140
; %bb.133:                              ;   in Loop: Header=BB4_115 Depth=3
	v_cmp_ne_u16_sdwa s[90:91], sext(v19), s48 src0_sel:BYTE_0 src1_sel:DWORD
	v_bfrev_b32_e32 v0, 1
	s_and_saveexec_b64 s[88:89], s[90:91]
	s_cbranch_execz .LBB4_139
; %bb.134:                              ;   in Loop: Header=BB4_115 Depth=3
	v_and_b32_e32 v0, 0x7c, v19
	v_and_b32_e32 v3, 3, v19
	v_cmp_ne_u32_e32 vcc, s49, v0
                                        ; implicit-def: $vgpr0
	s_and_saveexec_b64 s[90:91], vcc
	s_xor_b64 s[90:91], exec, s[90:91]
	s_cbranch_execz .LBB4_136
; %bb.135:                              ;   in Loop: Header=BB4_115 Depth=3
	v_ffbh_u32_e32 v5, v3
	v_min_u32_e32 v17, 32, v5
	v_subrev_u32_e32 v5, 29, v17
	v_lshlrev_b64 v[5:6], v5, v[19:20]
	v_bfe_u32 v0, v19, 2, 5
	v_and_b32_e32 v5, 3, v5
	v_cmp_eq_u32_e32 vcc, 0, v0
	v_sub_u32_e32 v6, 30, v17
	v_cndmask_b32_e32 v3, v3, v5, vcc
	v_lshlrev_b32_e32 v5, 24, v19
	v_cndmask_b32_e32 v0, v0, v6, vcc
	v_and_b32_e32 v5, 0x80000000, v5
	v_lshl_add_u32 v0, v0, 23, v5
	v_lshl_or_b32 v0, v3, 21, v0
	v_add_u32_e32 v0, 0x38000000, v0
                                        ; implicit-def: $vgpr3
.LBB4_136:                              ;   in Loop: Header=BB4_115 Depth=3
	s_andn2_saveexec_b64 s[90:91], s[90:91]
; %bb.137:                              ;   in Loop: Header=BB4_115 Depth=3
	v_cmp_gt_i16_sdwa vcc, sext(v19), v43 src0_sel:BYTE_0 src1_sel:DWORD
	v_cndmask_b32_e32 v0, v8, v54, vcc
	v_cmp_eq_u32_e32 vcc, 0, v3
	v_cndmask_b32_e32 v0, v55, v0, vcc
; %bb.138:                              ;   in Loop: Header=BB4_115 Depth=3
	s_or_b64 exec, exec, s[90:91]
.LBB4_139:                              ;   in Loop: Header=BB4_115 Depth=3
	s_or_b64 exec, exec, s[88:89]
.LBB4_140:                              ;   in Loop: Header=BB4_115 Depth=3
	s_or_b64 exec, exec, s[78:79]
	v_cmp_ne_u16_sdwa s[88:89], sext(v58), v59 src0_sel:BYTE_0 src1_sel:DWORD
	s_and_saveexec_b64 s[78:79], s[88:89]
	s_cbranch_execz .LBB4_148
; %bb.141:                              ;   in Loop: Header=BB4_115 Depth=3
	v_cmp_ne_u16_sdwa s[90:91], sext(v58), s48 src0_sel:BYTE_0 src1_sel:DWORD
	v_bfrev_b32_e32 v2, 1
	s_and_saveexec_b64 s[88:89], s[90:91]
	s_cbranch_execz .LBB4_147
; %bb.142:                              ;   in Loop: Header=BB4_115 Depth=3
	v_and_b32_e32 v2, 0x7c, v58
	v_and_b32_e32 v3, 3, v58
	v_cmp_ne_u32_e32 vcc, s49, v2
                                        ; implicit-def: $vgpr2
	s_and_saveexec_b64 s[90:91], vcc
	s_xor_b64 s[90:91], exec, s[90:91]
	s_cbranch_execz .LBB4_144
; %bb.143:                              ;   in Loop: Header=BB4_115 Depth=3
	v_ffbh_u32_e32 v5, v3
	v_min_u32_e32 v17, 32, v5
	v_subrev_u32_e32 v5, 29, v17
	v_lshlrev_b64 v[5:6], v5, v[58:59]
	v_bfe_u32 v2, v58, 2, 5
	v_and_b32_e32 v5, 3, v5
	v_cmp_eq_u32_e32 vcc, 0, v2
	v_sub_u32_e32 v6, 30, v17
	v_cndmask_b32_e32 v3, v3, v5, vcc
	v_lshlrev_b32_e32 v5, 24, v58
	v_cndmask_b32_e32 v2, v2, v6, vcc
	v_and_b32_e32 v5, 0x80000000, v5
	v_lshl_add_u32 v2, v2, 23, v5
	v_lshl_or_b32 v2, v3, 21, v2
	v_add_u32_e32 v2, 0x38000000, v2
                                        ; implicit-def: $vgpr3
.LBB4_144:                              ;   in Loop: Header=BB4_115 Depth=3
	s_andn2_saveexec_b64 s[90:91], s[90:91]
; %bb.145:                              ;   in Loop: Header=BB4_115 Depth=3
	v_cmp_gt_i16_sdwa vcc, sext(v58), v43 src0_sel:BYTE_0 src1_sel:DWORD
	v_cndmask_b32_e32 v2, v8, v54, vcc
	v_cmp_eq_u32_e32 vcc, 0, v3
	v_cndmask_b32_e32 v2, v55, v2, vcc
; %bb.146:                              ;   in Loop: Header=BB4_115 Depth=3
	s_or_b64 exec, exec, s[90:91]
.LBB4_147:                              ;   in Loop: Header=BB4_115 Depth=3
	s_or_b64 exec, exec, s[88:89]
.LBB4_148:                              ;   in Loop: Header=BB4_115 Depth=3
	s_or_b64 exec, exec, s[78:79]
	v_max_f32_e32 v2, v2, v2
	v_max_f32_e32 v0, v0, v0
	;; [unrolled: 1-line block ×3, first 2 shown]
.LBB4_149:                              ;   in Loop: Header=BB4_115 Depth=3
	s_andn2_saveexec_b64 s[76:77], s[76:77]
	s_cbranch_execz .LBB4_167
; %bb.150:                              ;   in Loop: Header=BB4_115 Depth=3
	v_mov_b32_e32 v2, 0
	v_mov_b32_e32 v0, 0
	s_and_saveexec_b64 s[78:79], s[20:21]
	s_cbranch_execz .LBB4_158
; %bb.151:                              ;   in Loop: Header=BB4_115 Depth=3
	v_cmp_ne_u16_sdwa s[88:89], sext(v19), s48 src0_sel:BYTE_0 src1_sel:DWORD
	v_bfrev_b32_e32 v0, 1
	s_and_saveexec_b64 s[20:21], s[88:89]
	s_cbranch_execz .LBB4_157
; %bb.152:                              ;   in Loop: Header=BB4_115 Depth=3
	v_and_b32_e32 v0, 0x7c, v19
	v_and_b32_e32 v3, 3, v19
	v_cmp_ne_u32_e32 vcc, s49, v0
                                        ; implicit-def: $vgpr0
	s_and_saveexec_b64 s[88:89], vcc
	s_xor_b64 s[88:89], exec, s[88:89]
	s_cbranch_execz .LBB4_154
; %bb.153:                              ;   in Loop: Header=BB4_115 Depth=3
	v_ffbh_u32_e32 v5, v3
	v_min_u32_e32 v17, 32, v5
	v_subrev_u32_e32 v5, 29, v17
	v_lshlrev_b64 v[5:6], v5, v[19:20]
	v_bfe_u32 v0, v19, 2, 5
	v_and_b32_e32 v5, 3, v5
	v_cmp_eq_u32_e32 vcc, 0, v0
	v_sub_u32_e32 v6, 30, v17
	v_cndmask_b32_e32 v3, v3, v5, vcc
	v_lshlrev_b32_e32 v5, 24, v19
	v_cndmask_b32_e32 v0, v0, v6, vcc
	v_and_b32_e32 v5, 0x80000000, v5
	v_lshl_add_u32 v0, v0, 23, v5
	v_lshl_or_b32 v0, v3, 21, v0
	v_add_u32_e32 v0, 0x38000000, v0
                                        ; implicit-def: $vgpr3
.LBB4_154:                              ;   in Loop: Header=BB4_115 Depth=3
	s_andn2_saveexec_b64 s[88:89], s[88:89]
; %bb.155:                              ;   in Loop: Header=BB4_115 Depth=3
	v_cmp_gt_i16_sdwa vcc, sext(v19), v43 src0_sel:BYTE_0 src1_sel:DWORD
	v_cndmask_b32_e32 v0, v8, v54, vcc
	v_cmp_eq_u32_e32 vcc, 0, v3
	v_cndmask_b32_e32 v0, v55, v0, vcc
; %bb.156:                              ;   in Loop: Header=BB4_115 Depth=3
	s_or_b64 exec, exec, s[88:89]
.LBB4_157:                              ;   in Loop: Header=BB4_115 Depth=3
	s_or_b64 exec, exec, s[20:21]
.LBB4_158:                              ;   in Loop: Header=BB4_115 Depth=3
	s_or_b64 exec, exec, s[78:79]
	v_cmp_ne_u16_sdwa s[78:79], sext(v58), v59 src0_sel:BYTE_0 src1_sel:DWORD
	s_and_saveexec_b64 s[20:21], s[78:79]
	s_cbranch_execz .LBB4_166
; %bb.159:                              ;   in Loop: Header=BB4_115 Depth=3
	v_cmp_ne_u16_sdwa s[88:89], sext(v58), s48 src0_sel:BYTE_0 src1_sel:DWORD
	v_bfrev_b32_e32 v2, 1
	s_and_saveexec_b64 s[78:79], s[88:89]
	s_cbranch_execz .LBB4_165
; %bb.160:                              ;   in Loop: Header=BB4_115 Depth=3
	v_and_b32_e32 v2, 0x7c, v58
	v_and_b32_e32 v3, 3, v58
	v_cmp_ne_u32_e32 vcc, s49, v2
                                        ; implicit-def: $vgpr2
	s_and_saveexec_b64 s[88:89], vcc
	s_xor_b64 s[88:89], exec, s[88:89]
	s_cbranch_execz .LBB4_162
; %bb.161:                              ;   in Loop: Header=BB4_115 Depth=3
	v_ffbh_u32_e32 v5, v3
	v_min_u32_e32 v17, 32, v5
	v_subrev_u32_e32 v5, 29, v17
	v_lshlrev_b64 v[5:6], v5, v[58:59]
	v_bfe_u32 v2, v58, 2, 5
	v_and_b32_e32 v5, 3, v5
	v_cmp_eq_u32_e32 vcc, 0, v2
	v_sub_u32_e32 v6, 30, v17
	v_cndmask_b32_e32 v3, v3, v5, vcc
	v_lshlrev_b32_e32 v5, 24, v58
	v_cndmask_b32_e32 v2, v2, v6, vcc
	v_and_b32_e32 v5, 0x80000000, v5
	v_lshl_add_u32 v2, v2, 23, v5
	v_lshl_or_b32 v2, v3, 21, v2
	v_add_u32_e32 v2, 0x38000000, v2
                                        ; implicit-def: $vgpr3
.LBB4_162:                              ;   in Loop: Header=BB4_115 Depth=3
	s_andn2_saveexec_b64 s[88:89], s[88:89]
; %bb.163:                              ;   in Loop: Header=BB4_115 Depth=3
	v_cmp_gt_i16_sdwa vcc, sext(v58), v43 src0_sel:BYTE_0 src1_sel:DWORD
	v_cndmask_b32_e32 v2, v8, v54, vcc
	v_cmp_eq_u32_e32 vcc, 0, v3
	v_cndmask_b32_e32 v2, v55, v2, vcc
; %bb.164:                              ;   in Loop: Header=BB4_115 Depth=3
	s_or_b64 exec, exec, s[88:89]
.LBB4_165:                              ;   in Loop: Header=BB4_115 Depth=3
	s_or_b64 exec, exec, s[78:79]
.LBB4_166:                              ;   in Loop: Header=BB4_115 Depth=3
	s_or_b64 exec, exec, s[20:21]
	v_max_f32_e32 v2, v2, v2
	v_max_f32_e32 v0, v0, v0
	v_min_f32_e32 v5, v0, v2
.LBB4_167:                              ;   in Loop: Header=BB4_115 Depth=3
	s_or_b64 exec, exec, s[76:77]
	v_and_b32_e32 v27, 0x7f800000, v5
	v_mov_b32_e32 v28, v59
	v_cmp_ne_u64_e32 vcc, s[58:59], v[27:28]
	v_and_b32_e32 v2, 0x7fffff, v5
	v_mov_b32_e32 v3, v59
                                        ; implicit-def: $vgpr56
	s_and_saveexec_b64 s[20:21], vcc
	s_xor_b64 s[76:77], exec, s[20:21]
	s_cbranch_execz .LBB4_181
; %bb.168:                              ;   in Loop: Header=BB4_115 Depth=3
	v_and_b32_e32 v27, 0x7fffffff, v5
	v_mov_b32_e32 v28, v59
	v_cmp_gt_u64_e32 vcc, s[60:61], v[27:28]
	v_and_b32_sdwa v0, v5, s50 dst_sel:DWORD dst_unused:UNUSED_PAD src0_sel:BYTE_3 src1_sel:DWORD
                                        ; implicit-def: $vgpr56
	s_and_saveexec_b64 s[20:21], vcc
	s_xor_b64 s[78:79], exec, s[20:21]
	s_cbranch_execz .LBB4_178
; %bb.169:                              ;   in Loop: Header=BB4_115 Depth=3
	v_mov_b32_e32 v56, 0
	v_cmp_ne_u32_e32 vcc, 0, v5
	s_and_saveexec_b64 s[88:89], vcc
	s_cbranch_execz .LBB4_177
; %bb.170:                              ;   in Loop: Header=BB4_115 Depth=3
	v_bfe_u32 v17, v5, 23, 8
	v_cmp_gt_u32_e64 s[20:21], s51, v17
	v_sub_u32_e32 v5, 0x71, v17
	v_cmp_eq_u32_e32 vcc, 0, v17
	v_cndmask_b32_e64 v5, 0, v5, s[20:21]
	v_cndmask_b32_e32 v20, v5, v25, vcc
	v_or_b32_e32 v6, 0x800000, v2
	v_add_u32_e32 v5, 21, v20
	v_cndmask_b32_e32 v2, v6, v2, vcc
	v_lshlrev_b64 v[5:6], v5, -1
	v_add_u32_e32 v23, 20, v20
	v_bfi_b32 v5, v5, 0, v2
	v_lshlrev_b64 v[27:28], v23, 1
	v_lshrrev_b64 v[2:3], v20, v[2:3]
	v_bfi_b32 v6, v6, 0, 0
	v_cmp_eq_u64_e64 s[20:21], v[5:6], v[27:28]
	v_mov_b32_e32 v6, v3
	v_mov_b32_e32 v5, v2
	s_and_saveexec_b64 s[90:91], s[20:21]
; %bb.171:                              ;   in Loop: Header=BB4_115 Depth=3
	v_bfe_u32 v3, v2, 21, 1
	v_add_co_u32_e64 v3, s[20:21], v2, v3
	v_add_co_u32_e64 v5, s[20:21], -1, v3
; %bb.172:                              ;   in Loop: Header=BB4_115 Depth=3
	s_or_b64 exec, exec, s[90:91]
	v_add_u32_e32 v3, 0xffffff81, v17
	v_cndmask_b32_e32 v3, v3, v48, vcc
	v_lshrrev_b32_e32 v6, 23, v2
	v_add3_u32 v17, v20, v3, v6
	v_add_u32_e32 v6, 14, v17
	v_and_b32_e32 v3, 0x1fffff, v5
	v_add_u32_e32 v2, v3, v2
	v_mov_b32_e32 v3, v59
	v_cmp_ne_u32_e32 vcc, 0, v6
                                        ; implicit-def: $vgpr5
	s_and_saveexec_b64 s[20:21], vcc
	s_xor_b64 s[20:21], exec, s[20:21]
; %bb.173:                              ;   in Loop: Header=BB4_115 Depth=3
	v_cmp_lt_u64_e32 vcc, s[62:63], v[2:3]
	v_add_u32_e32 v5, 15, v17
	v_cndmask_b32_e32 v5, v6, v5, vcc
	v_cndmask_b32_e64 v6, 0, 1, vcc
	v_lshrrev_b64 v[2:3], v6, v[2:3]
; %bb.174:                              ;   in Loop: Header=BB4_115 Depth=3
	s_andn2_saveexec_b64 s[20:21], s[20:21]
; %bb.175:                              ;   in Loop: Header=BB4_115 Depth=3
	v_bfe_u32 v5, v2, 23, 1
; %bb.176:                              ;   in Loop: Header=BB4_115 Depth=3
	s_or_b64 exec, exec, s[20:21]
	v_lshrrev_b64 v[2:3], 21, v[2:3]
	v_cmp_gt_i32_e32 vcc, 32, v5
	v_cndmask_b32_e32 v3, 0, v3, vcc
	v_cndmask_b32_e32 v2, 3, v2, vcc
	v_cmp_eq_u64_e64 s[20:21], 0, v[2:3]
	v_min_i32_e32 v3, 31, v5
	v_lshlrev_b32_e32 v3, 2, v3
	v_cmp_eq_u32_e32 vcc, 0, v5
	v_and_b32_e32 v3, 0xfc, v3
	v_and_or_b32 v2, v2, 3, v3
	s_and_b64 s[20:21], vcc, s[20:21]
	v_cndmask_b32_e64 v2, v2, 0, s[20:21]
	v_or_b32_e32 v56, v2, v0
.LBB4_177:                              ;   in Loop: Header=BB4_115 Depth=3
	s_or_b64 exec, exec, s[88:89]
                                        ; implicit-def: $vgpr0
.LBB4_178:                              ;   in Loop: Header=BB4_115 Depth=3
	s_andn2_saveexec_b64 s[20:21], s[78:79]
; %bb.179:                              ;   in Loop: Header=BB4_115 Depth=3
	v_or_b32_e32 v56, 0x7b, v0
; %bb.180:                              ;   in Loop: Header=BB4_115 Depth=3
	s_or_b64 exec, exec, s[20:21]
                                        ; implicit-def: $vgpr5
                                        ; implicit-def: $vgpr2_vgpr3
.LBB4_181:                              ;   in Loop: Header=BB4_115 Depth=3
	s_andn2_saveexec_b64 s[20:21], s[76:77]
	s_cbranch_execz .LBB4_187
; %bb.182:                              ;   in Loop: Header=BB4_115 Depth=3
	v_cmp_ne_u64_e32 vcc, 0, v[2:3]
                                        ; implicit-def: $vgpr56
	s_and_saveexec_b64 s[76:77], vcc
	s_xor_b64 s[76:77], exec, s[76:77]
; %bb.183:                              ;   in Loop: Header=BB4_115 Depth=3
	v_or_b32_sdwa v56, v5, s52 dst_sel:DWORD dst_unused:UNUSED_PAD src0_sel:BYTE_3 src1_sel:DWORD
                                        ; implicit-def: $vgpr5
; %bb.184:                              ;   in Loop: Header=BB4_115 Depth=3
	s_andn2_saveexec_b64 s[76:77], s[76:77]
; %bb.185:                              ;   in Loop: Header=BB4_115 Depth=3
	v_cmp_lt_i32_e32 vcc, -1, v5
	v_cndmask_b32_e32 v56, v49, v31, vcc
; %bb.186:                              ;   in Loop: Header=BB4_115 Depth=3
	s_or_b64 exec, exec, s[76:77]
.LBB4_187:                              ;   in Loop: Header=BB4_115 Depth=3
	s_or_b64 exec, exec, s[20:21]
	v_lshrrev_b16_e32 v2, 8, v19
	v_lshrrev_b16_e32 v27, 8, v58
	v_cmp_ne_u16_e32 vcc, 0, v2
                                        ; implicit-def: $vgpr5
	s_and_saveexec_b64 s[20:21], s[14:15]
	s_xor_b64 s[76:77], exec, s[20:21]
	s_cbranch_execz .LBB4_205
; %bb.188:                              ;   in Loop: Header=BB4_115 Depth=3
	v_mov_b32_e32 v5, 0
	v_mov_b32_e32 v0, 0
	s_and_saveexec_b64 s[78:79], vcc
	s_cbranch_execz .LBB4_196
; %bb.189:                              ;   in Loop: Header=BB4_115 Depth=3
	v_cmp_ne_u16_e64 s[20:21], s50, v2
	v_bfrev_b32_e32 v0, 1
	s_and_saveexec_b64 s[88:89], s[20:21]
	s_cbranch_execz .LBB4_195
; %bb.190:                              ;   in Loop: Header=BB4_115 Depth=3
	v_and_b32_e32 v0, 0x7c, v2
	v_and_b32_e32 v6, 3, v2
	v_cmp_ne_u32_e64 s[20:21], s49, v0
                                        ; implicit-def: $vgpr0
	s_and_saveexec_b64 s[90:91], s[20:21]
	s_xor_b64 s[90:91], exec, s[90:91]
	s_cbranch_execz .LBB4_192
; %bb.191:                              ;   in Loop: Header=BB4_115 Depth=3
	v_ffbh_u32_e32 v17, v6
	v_min_u32_e32 v17, 32, v17
	v_mov_b32_e32 v3, v59
	v_subrev_u32_e32 v20, 29, v17
	v_bfe_u32 v0, v2, 2, 5
	v_lshlrev_b64 v[2:3], v20, v[2:3]
	v_sub_u32_e32 v3, 30, v17
	v_cmp_eq_u32_e64 s[20:21], 0, v0
	v_cndmask_b32_e64 v0, v0, v3, s[20:21]
	v_lshlrev_b32_e32 v3, 16, v19
	v_and_b32_e32 v2, 3, v2
	v_and_b32_e32 v3, 0x80000000, v3
	v_cndmask_b32_e64 v2, v6, v2, s[20:21]
	v_lshl_add_u32 v0, v0, 23, v3
	v_lshl_or_b32 v0, v2, 21, v0
	v_add_u32_e32 v0, 0x38000000, v0
                                        ; implicit-def: $vgpr6
.LBB4_192:                              ;   in Loop: Header=BB4_115 Depth=3
	s_andn2_saveexec_b64 s[90:91], s[90:91]
; %bb.193:                              ;   in Loop: Header=BB4_115 Depth=3
	v_cmp_lt_i16_e64 s[20:21], -1, v19
	v_cndmask_b32_e64 v0, v8, v54, s[20:21]
	v_cmp_eq_u32_e64 s[20:21], 0, v6
	v_cndmask_b32_e64 v0, v55, v0, s[20:21]
; %bb.194:                              ;   in Loop: Header=BB4_115 Depth=3
	s_or_b64 exec, exec, s[90:91]
.LBB4_195:                              ;   in Loop: Header=BB4_115 Depth=3
	s_or_b64 exec, exec, s[88:89]
.LBB4_196:                              ;   in Loop: Header=BB4_115 Depth=3
	s_or_b64 exec, exec, s[78:79]
	v_cmp_ne_u16_e64 s[20:21], 0, v27
	s_and_saveexec_b64 s[78:79], s[20:21]
	s_cbranch_execz .LBB4_204
; %bb.197:                              ;   in Loop: Header=BB4_115 Depth=3
	v_cmp_ne_u16_e64 s[20:21], s50, v27
	v_bfrev_b32_e32 v5, 1
	s_and_saveexec_b64 s[88:89], s[20:21]
	s_cbranch_execz .LBB4_203
; %bb.198:                              ;   in Loop: Header=BB4_115 Depth=3
	v_and_b32_e32 v3, 0x7c, v27
	v_and_b32_e32 v2, 3, v27
	v_cmp_ne_u32_e64 s[20:21], s49, v3
                                        ; implicit-def: $vgpr5
	s_and_saveexec_b64 s[90:91], s[20:21]
	s_xor_b64 s[90:91], exec, s[90:91]
	s_cbranch_execz .LBB4_200
; %bb.199:                              ;   in Loop: Header=BB4_115 Depth=3
	v_ffbh_u32_e32 v5, v2
	v_min_u32_e32 v17, 32, v5
	v_mov_b32_e32 v28, v59
	v_subrev_u32_e32 v5, 29, v17
	v_lshlrev_b64 v[5:6], v5, v[27:28]
	v_bfe_u32 v3, v27, 2, 5
	v_and_b32_e32 v5, 3, v5
	v_cmp_eq_u32_e64 s[20:21], 0, v3
	v_sub_u32_e32 v6, 30, v17
	v_cndmask_b32_e64 v2, v2, v5, s[20:21]
	v_lshlrev_b32_e32 v5, 16, v58
	v_cndmask_b32_e64 v3, v3, v6, s[20:21]
	v_and_b32_e32 v5, 0x80000000, v5
	v_lshl_add_u32 v3, v3, 23, v5
	v_lshl_or_b32 v2, v2, 21, v3
	v_add_u32_e32 v5, 0x38000000, v2
                                        ; implicit-def: $vgpr2
.LBB4_200:                              ;   in Loop: Header=BB4_115 Depth=3
	s_andn2_saveexec_b64 s[90:91], s[90:91]
; %bb.201:                              ;   in Loop: Header=BB4_115 Depth=3
	v_cmp_lt_i16_e64 s[20:21], -1, v58
	v_cndmask_b32_e64 v3, v8, v54, s[20:21]
	v_cmp_eq_u32_e64 s[20:21], 0, v2
	v_cndmask_b32_e64 v5, v55, v3, s[20:21]
; %bb.202:                              ;   in Loop: Header=BB4_115 Depth=3
	s_or_b64 exec, exec, s[90:91]
.LBB4_203:                              ;   in Loop: Header=BB4_115 Depth=3
	s_or_b64 exec, exec, s[88:89]
.LBB4_204:                              ;   in Loop: Header=BB4_115 Depth=3
	s_or_b64 exec, exec, s[78:79]
	v_max_f32_e32 v2, v5, v5
	v_max_f32_e32 v0, v0, v0
	;; [unrolled: 1-line block ×3, first 2 shown]
                                        ; implicit-def: $vgpr27
                                        ; implicit-def: $vgpr2
.LBB4_205:                              ;   in Loop: Header=BB4_115 Depth=3
	s_andn2_saveexec_b64 s[20:21], s[76:77]
	s_cbranch_execz .LBB4_223
; %bb.206:                              ;   in Loop: Header=BB4_115 Depth=3
	v_mov_b32_e32 v5, 0
	v_mov_b32_e32 v0, 0
	s_and_saveexec_b64 s[76:77], vcc
	s_cbranch_execz .LBB4_214
; %bb.207:                              ;   in Loop: Header=BB4_115 Depth=3
	v_cmp_ne_u16_e32 vcc, s50, v2
	v_bfrev_b32_e32 v0, 1
	s_and_saveexec_b64 s[78:79], vcc
	s_cbranch_execz .LBB4_213
; %bb.208:                              ;   in Loop: Header=BB4_115 Depth=3
	v_and_b32_e32 v0, 0x7c, v2
	v_and_b32_e32 v6, 3, v2
	v_cmp_ne_u32_e32 vcc, s49, v0
                                        ; implicit-def: $vgpr0
	s_and_saveexec_b64 s[88:89], vcc
	s_xor_b64 s[88:89], exec, s[88:89]
	s_cbranch_execz .LBB4_210
; %bb.209:                              ;   in Loop: Header=BB4_115 Depth=3
	v_ffbh_u32_e32 v17, v6
	v_min_u32_e32 v17, 32, v17
	v_mov_b32_e32 v3, v59
	v_subrev_u32_e32 v20, 29, v17
	v_bfe_u32 v0, v2, 2, 5
	v_lshlrev_b64 v[2:3], v20, v[2:3]
	v_sub_u32_e32 v3, 30, v17
	v_cmp_eq_u32_e32 vcc, 0, v0
	v_cndmask_b32_e32 v0, v0, v3, vcc
	v_lshlrev_b32_e32 v3, 16, v19
	v_and_b32_e32 v2, 3, v2
	v_and_b32_e32 v3, 0x80000000, v3
	v_cndmask_b32_e32 v2, v6, v2, vcc
	v_lshl_add_u32 v0, v0, 23, v3
	v_lshl_or_b32 v0, v2, 21, v0
	v_add_u32_e32 v0, 0x38000000, v0
                                        ; implicit-def: $vgpr6
.LBB4_210:                              ;   in Loop: Header=BB4_115 Depth=3
	s_andn2_saveexec_b64 s[88:89], s[88:89]
; %bb.211:                              ;   in Loop: Header=BB4_115 Depth=3
	v_cmp_lt_i16_e32 vcc, -1, v19
	v_cndmask_b32_e32 v0, v8, v54, vcc
	v_cmp_eq_u32_e32 vcc, 0, v6
	v_cndmask_b32_e32 v0, v55, v0, vcc
; %bb.212:                              ;   in Loop: Header=BB4_115 Depth=3
	s_or_b64 exec, exec, s[88:89]
.LBB4_213:                              ;   in Loop: Header=BB4_115 Depth=3
	s_or_b64 exec, exec, s[78:79]
.LBB4_214:                              ;   in Loop: Header=BB4_115 Depth=3
	s_or_b64 exec, exec, s[76:77]
	v_cmp_ne_u16_e32 vcc, 0, v27
	s_and_saveexec_b64 s[76:77], vcc
	s_cbranch_execz .LBB4_222
; %bb.215:                              ;   in Loop: Header=BB4_115 Depth=3
	v_cmp_ne_u16_e32 vcc, s50, v27
	v_bfrev_b32_e32 v5, 1
	s_and_saveexec_b64 s[78:79], vcc
	s_cbranch_execz .LBB4_221
; %bb.216:                              ;   in Loop: Header=BB4_115 Depth=3
	v_and_b32_e32 v3, 0x7c, v27
	v_and_b32_e32 v2, 3, v27
	v_cmp_ne_u32_e32 vcc, s49, v3
                                        ; implicit-def: $vgpr5
	s_and_saveexec_b64 s[88:89], vcc
	s_xor_b64 s[88:89], exec, s[88:89]
	s_cbranch_execz .LBB4_218
; %bb.217:                              ;   in Loop: Header=BB4_115 Depth=3
	v_ffbh_u32_e32 v5, v2
	v_min_u32_e32 v17, 32, v5
	v_mov_b32_e32 v28, v59
	v_subrev_u32_e32 v5, 29, v17
	v_lshlrev_b64 v[5:6], v5, v[27:28]
	v_bfe_u32 v3, v27, 2, 5
	v_and_b32_e32 v5, 3, v5
	v_cmp_eq_u32_e32 vcc, 0, v3
	v_sub_u32_e32 v6, 30, v17
	v_cndmask_b32_e32 v2, v2, v5, vcc
	v_lshlrev_b32_e32 v5, 16, v58
	v_cndmask_b32_e32 v3, v3, v6, vcc
	v_and_b32_e32 v5, 0x80000000, v5
	v_lshl_add_u32 v3, v3, 23, v5
	v_lshl_or_b32 v2, v2, 21, v3
	v_add_u32_e32 v5, 0x38000000, v2
                                        ; implicit-def: $vgpr2
.LBB4_218:                              ;   in Loop: Header=BB4_115 Depth=3
	s_andn2_saveexec_b64 s[88:89], s[88:89]
; %bb.219:                              ;   in Loop: Header=BB4_115 Depth=3
	v_cmp_lt_i16_e32 vcc, -1, v58
	v_cndmask_b32_e32 v3, v8, v54, vcc
	v_cmp_eq_u32_e32 vcc, 0, v2
	v_cndmask_b32_e32 v5, v55, v3, vcc
; %bb.220:                              ;   in Loop: Header=BB4_115 Depth=3
	s_or_b64 exec, exec, s[88:89]
.LBB4_221:                              ;   in Loop: Header=BB4_115 Depth=3
	s_or_b64 exec, exec, s[78:79]
.LBB4_222:                              ;   in Loop: Header=BB4_115 Depth=3
	s_or_b64 exec, exec, s[76:77]
	v_max_f32_e32 v2, v5, v5
	v_max_f32_e32 v0, v0, v0
	v_min_f32_e32 v5, v0, v2
.LBB4_223:                              ;   in Loop: Header=BB4_115 Depth=3
	s_or_b64 exec, exec, s[20:21]
	v_and_b32_e32 v27, 0x7f800000, v5
	v_mov_b32_e32 v28, v59
	v_cmp_ne_u64_e32 vcc, s[58:59], v[27:28]
	v_and_b32_e32 v2, 0x7fffff, v5
	v_mov_b32_e32 v3, v59
                                        ; implicit-def: $vgpr57
	s_and_saveexec_b64 s[20:21], vcc
	s_xor_b64 s[76:77], exec, s[20:21]
	s_cbranch_execz .LBB4_237
; %bb.224:                              ;   in Loop: Header=BB4_115 Depth=3
	v_and_b32_e32 v27, 0x7fffffff, v5
	v_mov_b32_e32 v28, v59
	v_cmp_gt_u64_e32 vcc, s[60:61], v[27:28]
	v_and_b32_sdwa v0, v5, s50 dst_sel:DWORD dst_unused:UNUSED_PAD src0_sel:BYTE_3 src1_sel:DWORD
                                        ; implicit-def: $vgpr57
	s_and_saveexec_b64 s[20:21], vcc
	s_xor_b64 s[78:79], exec, s[20:21]
	s_cbranch_execz .LBB4_234
; %bb.225:                              ;   in Loop: Header=BB4_115 Depth=3
	v_mov_b32_e32 v57, 0
	v_cmp_ne_u32_e32 vcc, 0, v5
	s_and_saveexec_b64 s[88:89], vcc
	s_cbranch_execz .LBB4_233
; %bb.226:                              ;   in Loop: Header=BB4_115 Depth=3
	v_bfe_u32 v17, v5, 23, 8
	v_cmp_gt_u32_e64 s[20:21], s51, v17
	v_sub_u32_e32 v5, 0x71, v17
	v_cmp_eq_u32_e32 vcc, 0, v17
	v_cndmask_b32_e64 v5, 0, v5, s[20:21]
	v_cndmask_b32_e32 v20, v5, v25, vcc
	v_or_b32_e32 v6, 0x800000, v2
	v_add_u32_e32 v5, 21, v20
	v_cndmask_b32_e32 v2, v6, v2, vcc
	v_lshlrev_b64 v[5:6], v5, -1
	v_add_u32_e32 v23, 20, v20
	v_bfi_b32 v5, v5, 0, v2
	v_lshlrev_b64 v[27:28], v23, 1
	v_lshrrev_b64 v[2:3], v20, v[2:3]
	v_bfi_b32 v6, v6, 0, 0
	v_cmp_eq_u64_e64 s[20:21], v[5:6], v[27:28]
	v_mov_b32_e32 v6, v3
	v_mov_b32_e32 v5, v2
	s_and_saveexec_b64 s[90:91], s[20:21]
; %bb.227:                              ;   in Loop: Header=BB4_115 Depth=3
	v_bfe_u32 v3, v2, 21, 1
	v_add_co_u32_e64 v3, s[20:21], v2, v3
	v_add_co_u32_e64 v5, s[20:21], -1, v3
; %bb.228:                              ;   in Loop: Header=BB4_115 Depth=3
	s_or_b64 exec, exec, s[90:91]
	v_add_u32_e32 v3, 0xffffff81, v17
	v_cndmask_b32_e32 v3, v3, v48, vcc
	v_lshrrev_b32_e32 v6, 23, v2
	v_add3_u32 v17, v20, v3, v6
	v_add_u32_e32 v6, 14, v17
	v_and_b32_e32 v3, 0x1fffff, v5
	v_add_u32_e32 v2, v3, v2
	v_mov_b32_e32 v3, v59
	v_cmp_ne_u32_e32 vcc, 0, v6
                                        ; implicit-def: $vgpr5
	s_and_saveexec_b64 s[20:21], vcc
	s_xor_b64 s[20:21], exec, s[20:21]
; %bb.229:                              ;   in Loop: Header=BB4_115 Depth=3
	v_cmp_lt_u64_e32 vcc, s[62:63], v[2:3]
	v_add_u32_e32 v5, 15, v17
	v_cndmask_b32_e32 v5, v6, v5, vcc
	v_cndmask_b32_e64 v6, 0, 1, vcc
	v_lshrrev_b64 v[2:3], v6, v[2:3]
; %bb.230:                              ;   in Loop: Header=BB4_115 Depth=3
	s_andn2_saveexec_b64 s[20:21], s[20:21]
; %bb.231:                              ;   in Loop: Header=BB4_115 Depth=3
	v_bfe_u32 v5, v2, 23, 1
; %bb.232:                              ;   in Loop: Header=BB4_115 Depth=3
	s_or_b64 exec, exec, s[20:21]
	v_lshrrev_b64 v[2:3], 21, v[2:3]
	v_cmp_gt_i32_e32 vcc, 32, v5
	v_cndmask_b32_e32 v3, 0, v3, vcc
	v_cndmask_b32_e32 v2, 3, v2, vcc
	v_cmp_eq_u64_e64 s[20:21], 0, v[2:3]
	v_min_i32_e32 v3, 31, v5
	v_lshlrev_b32_e32 v3, 2, v3
	v_cmp_eq_u32_e32 vcc, 0, v5
	v_and_b32_e32 v3, 0xfc, v3
	v_and_or_b32 v2, v2, 3, v3
	s_and_b64 s[20:21], vcc, s[20:21]
	v_cndmask_b32_e64 v2, v2, 0, s[20:21]
	v_or_b32_e32 v57, v2, v0
.LBB4_233:                              ;   in Loop: Header=BB4_115 Depth=3
	s_or_b64 exec, exec, s[88:89]
                                        ; implicit-def: $vgpr0
.LBB4_234:                              ;   in Loop: Header=BB4_115 Depth=3
	s_andn2_saveexec_b64 s[20:21], s[78:79]
; %bb.235:                              ;   in Loop: Header=BB4_115 Depth=3
	v_or_b32_e32 v57, 0x7b, v0
; %bb.236:                              ;   in Loop: Header=BB4_115 Depth=3
	s_or_b64 exec, exec, s[20:21]
                                        ; implicit-def: $vgpr5
                                        ; implicit-def: $vgpr2_vgpr3
.LBB4_237:                              ;   in Loop: Header=BB4_115 Depth=3
	s_andn2_saveexec_b64 s[20:21], s[76:77]
	s_cbranch_execz .LBB4_243
; %bb.238:                              ;   in Loop: Header=BB4_115 Depth=3
	v_cmp_ne_u64_e32 vcc, 0, v[2:3]
                                        ; implicit-def: $vgpr57
	s_and_saveexec_b64 s[76:77], vcc
	s_xor_b64 s[76:77], exec, s[76:77]
; %bb.239:                              ;   in Loop: Header=BB4_115 Depth=3
	v_or_b32_sdwa v57, v5, s52 dst_sel:DWORD dst_unused:UNUSED_PAD src0_sel:BYTE_3 src1_sel:DWORD
                                        ; implicit-def: $vgpr5
; %bb.240:                              ;   in Loop: Header=BB4_115 Depth=3
	s_andn2_saveexec_b64 s[76:77], s[76:77]
; %bb.241:                              ;   in Loop: Header=BB4_115 Depth=3
	v_cmp_lt_i32_e32 vcc, -1, v5
	v_cndmask_b32_e32 v57, v49, v31, vcc
; %bb.242:                              ;   in Loop: Header=BB4_115 Depth=3
	s_or_b64 exec, exec, s[76:77]
.LBB4_243:                              ;   in Loop: Header=BB4_115 Depth=3
	s_or_b64 exec, exec, s[20:21]
	v_lshrrev_b32_e32 v17, 16, v19
	v_lshrrev_b32_e32 v0, 16, v58
	v_cmp_ne_u16_sdwa s[20:21], v17, v59 src0_sel:BYTE_0 src1_sel:DWORD
                                        ; implicit-def: $vgpr5
	s_and_saveexec_b64 s[76:77], s[14:15]
	s_xor_b64 s[76:77], exec, s[76:77]
	s_cbranch_execz .LBB4_261
; %bb.244:                              ;   in Loop: Header=BB4_115 Depth=3
	v_mov_b32_e32 v3, 0
	v_mov_b32_e32 v2, 0
	s_and_saveexec_b64 s[78:79], s[20:21]
	s_cbranch_execz .LBB4_252
; %bb.245:                              ;   in Loop: Header=BB4_115 Depth=3
	v_cmp_ne_u16_sdwa s[90:91], v17, s50 src0_sel:BYTE_0 src1_sel:DWORD
	v_bfrev_b32_e32 v2, 1
	s_and_saveexec_b64 s[88:89], s[90:91]
	s_cbranch_execz .LBB4_251
; %bb.246:                              ;   in Loop: Header=BB4_115 Depth=3
	v_and_b32_e32 v2, 0x7c0000, v19
	v_bfe_u32 v5, v19, 16, 2
	v_cmp_ne_u32_e32 vcc, s53, v2
                                        ; implicit-def: $vgpr2
	s_and_saveexec_b64 s[90:91], vcc
	s_xor_b64 s[90:91], exec, s[90:91]
	s_cbranch_execz .LBB4_248
; %bb.247:                              ;   in Loop: Header=BB4_115 Depth=3
	v_ffbh_u32_e32 v6, v5
	v_min_u32_e32 v6, 32, v6
	v_bfe_u32 v2, v19, 18, 5
	v_subrev_u32_e32 v20, 29, v6
	v_lshlrev_b64 v[27:28], v20, v[17:18]
	v_sub_u32_e32 v6, 30, v6
	v_cmp_eq_u32_e32 vcc, 0, v2
	v_cndmask_b32_e32 v2, v2, v6, vcc
	v_lshlrev_b32_e32 v6, 24, v17
	v_and_b32_e32 v20, 3, v27
	v_and_b32_e32 v6, 0x80000000, v6
	v_cndmask_b32_e32 v5, v5, v20, vcc
	v_lshl_add_u32 v2, v2, 23, v6
	v_lshl_or_b32 v2, v5, 21, v2
	v_add_u32_e32 v2, 0x38000000, v2
                                        ; implicit-def: $vgpr5
                                        ; implicit-def: $vgpr17
.LBB4_248:                              ;   in Loop: Header=BB4_115 Depth=3
	s_andn2_saveexec_b64 s[90:91], s[90:91]
; %bb.249:                              ;   in Loop: Header=BB4_115 Depth=3
	v_cmp_gt_i16_sdwa vcc, sext(v17), v43 src0_sel:BYTE_0 src1_sel:DWORD
	v_cndmask_b32_e32 v2, v8, v54, vcc
	v_cmp_eq_u32_e32 vcc, 0, v5
	v_cndmask_b32_e32 v2, v55, v2, vcc
; %bb.250:                              ;   in Loop: Header=BB4_115 Depth=3
	s_or_b64 exec, exec, s[90:91]
.LBB4_251:                              ;   in Loop: Header=BB4_115 Depth=3
	s_or_b64 exec, exec, s[88:89]
.LBB4_252:                              ;   in Loop: Header=BB4_115 Depth=3
	s_or_b64 exec, exec, s[78:79]
	v_and_b32_sdwa v6, v58, s39 dst_sel:DWORD dst_unused:UNUSED_PAD src0_sel:WORD_1 src1_sel:DWORD
	v_lshrrev_b32_e32 v5, 16, v58
	v_cmp_ne_u16_e32 vcc, 0, v6
	s_and_saveexec_b64 s[78:79], vcc
	s_cbranch_execz .LBB4_260
; %bb.253:                              ;   in Loop: Header=BB4_115 Depth=3
	v_cmp_ne_u16_e32 vcc, s50, v6
	v_bfrev_b32_e32 v3, 1
	s_and_saveexec_b64 s[88:89], vcc
	s_cbranch_execz .LBB4_259
; %bb.254:                              ;   in Loop: Header=BB4_115 Depth=3
	v_and_b32_e32 v3, 0x7c0000, v58
	v_bfe_u32 v6, v58, 16, 2
	v_cmp_ne_u32_e32 vcc, s53, v3
                                        ; implicit-def: $vgpr3
	s_and_saveexec_b64 s[90:91], vcc
	s_xor_b64 s[90:91], exec, s[90:91]
	s_cbranch_execz .LBB4_256
; %bb.255:                              ;   in Loop: Header=BB4_115 Depth=3
	v_ffbh_u32_e32 v5, v6
	v_min_u32_e32 v5, 32, v5
	v_subrev_u32_e32 v17, 29, v5
	v_bfe_u32 v3, v58, 18, 5
	v_lshlrev_b64 v[27:28], v17, v[0:1]
	v_sub_u32_e32 v5, 30, v5
	v_cmp_eq_u32_e32 vcc, 0, v3
	v_lshlrev_b32_e32 v0, 24, v0
	v_and_b32_e32 v17, 3, v27
	v_cndmask_b32_e32 v3, v3, v5, vcc
	v_and_b32_e32 v0, 0x80000000, v0
	v_cndmask_b32_e32 v5, v6, v17, vcc
	v_lshl_add_u32 v0, v3, 23, v0
	v_lshl_or_b32 v0, v5, 21, v0
	v_add_u32_e32 v3, 0x38000000, v0
                                        ; implicit-def: $vgpr6
                                        ; implicit-def: $vgpr5
.LBB4_256:                              ;   in Loop: Header=BB4_115 Depth=3
	s_andn2_saveexec_b64 s[90:91], s[90:91]
; %bb.257:                              ;   in Loop: Header=BB4_115 Depth=3
	v_cmp_gt_i16_sdwa vcc, sext(v5), v43 src0_sel:BYTE_0 src1_sel:DWORD
	v_cndmask_b32_e32 v0, v8, v54, vcc
	v_cmp_eq_u32_e32 vcc, 0, v6
	v_cndmask_b32_e32 v3, v55, v0, vcc
; %bb.258:                              ;   in Loop: Header=BB4_115 Depth=3
	s_or_b64 exec, exec, s[90:91]
.LBB4_259:                              ;   in Loop: Header=BB4_115 Depth=3
	s_or_b64 exec, exec, s[88:89]
.LBB4_260:                              ;   in Loop: Header=BB4_115 Depth=3
	s_or_b64 exec, exec, s[78:79]
	v_max_f32_e32 v0, v3, v3
	v_max_f32_e32 v2, v2, v2
	;; [unrolled: 1-line block ×3, first 2 shown]
                                        ; implicit-def: $vgpr17
                                        ; implicit-def: $vgpr0
.LBB4_261:                              ;   in Loop: Header=BB4_115 Depth=3
	s_andn2_saveexec_b64 s[76:77], s[76:77]
	s_cbranch_execz .LBB4_279
; %bb.262:                              ;   in Loop: Header=BB4_115 Depth=3
	v_mov_b32_e32 v3, 0
	v_mov_b32_e32 v2, 0
	s_and_saveexec_b64 s[78:79], s[20:21]
	s_cbranch_execz .LBB4_270
; %bb.263:                              ;   in Loop: Header=BB4_115 Depth=3
	v_cmp_ne_u16_sdwa s[88:89], v17, s50 src0_sel:BYTE_0 src1_sel:DWORD
	v_bfrev_b32_e32 v2, 1
	s_and_saveexec_b64 s[20:21], s[88:89]
	s_cbranch_execz .LBB4_269
; %bb.264:                              ;   in Loop: Header=BB4_115 Depth=3
	v_and_b32_e32 v2, 0x7c0000, v19
	v_bfe_u32 v5, v19, 16, 2
	v_cmp_ne_u32_e32 vcc, s53, v2
                                        ; implicit-def: $vgpr2
	s_and_saveexec_b64 s[88:89], vcc
	s_xor_b64 s[88:89], exec, s[88:89]
	s_cbranch_execz .LBB4_266
; %bb.265:                              ;   in Loop: Header=BB4_115 Depth=3
	v_ffbh_u32_e32 v6, v5
	v_min_u32_e32 v6, 32, v6
	v_bfe_u32 v2, v19, 18, 5
	v_subrev_u32_e32 v20, 29, v6
	v_lshlrev_b64 v[27:28], v20, v[17:18]
	v_sub_u32_e32 v6, 30, v6
	v_cmp_eq_u32_e32 vcc, 0, v2
	v_cndmask_b32_e32 v2, v2, v6, vcc
	v_lshlrev_b32_e32 v6, 24, v17
	v_and_b32_e32 v20, 3, v27
	v_and_b32_e32 v6, 0x80000000, v6
	v_cndmask_b32_e32 v5, v5, v20, vcc
	v_lshl_add_u32 v2, v2, 23, v6
	v_lshl_or_b32 v2, v5, 21, v2
	v_add_u32_e32 v2, 0x38000000, v2
                                        ; implicit-def: $vgpr5
                                        ; implicit-def: $vgpr17
.LBB4_266:                              ;   in Loop: Header=BB4_115 Depth=3
	s_andn2_saveexec_b64 s[88:89], s[88:89]
; %bb.267:                              ;   in Loop: Header=BB4_115 Depth=3
	v_cmp_gt_i16_sdwa vcc, sext(v17), v43 src0_sel:BYTE_0 src1_sel:DWORD
	v_cndmask_b32_e32 v2, v8, v54, vcc
	v_cmp_eq_u32_e32 vcc, 0, v5
	v_cndmask_b32_e32 v2, v55, v2, vcc
; %bb.268:                              ;   in Loop: Header=BB4_115 Depth=3
	s_or_b64 exec, exec, s[88:89]
.LBB4_269:                              ;   in Loop: Header=BB4_115 Depth=3
	s_or_b64 exec, exec, s[20:21]
.LBB4_270:                              ;   in Loop: Header=BB4_115 Depth=3
	s_or_b64 exec, exec, s[78:79]
	v_and_b32_sdwa v6, v58, s39 dst_sel:DWORD dst_unused:UNUSED_PAD src0_sel:WORD_1 src1_sel:DWORD
	v_lshrrev_b32_e32 v5, 16, v58
	v_cmp_ne_u16_e32 vcc, 0, v6
	s_and_saveexec_b64 s[20:21], vcc
	s_cbranch_execz .LBB4_278
; %bb.271:                              ;   in Loop: Header=BB4_115 Depth=3
	v_cmp_ne_u16_e32 vcc, s50, v6
	v_bfrev_b32_e32 v3, 1
	s_and_saveexec_b64 s[78:79], vcc
	s_cbranch_execz .LBB4_277
; %bb.272:                              ;   in Loop: Header=BB4_115 Depth=3
	v_and_b32_e32 v3, 0x7c0000, v58
	v_bfe_u32 v6, v58, 16, 2
	v_cmp_ne_u32_e32 vcc, s53, v3
                                        ; implicit-def: $vgpr3
	s_and_saveexec_b64 s[88:89], vcc
	s_xor_b64 s[88:89], exec, s[88:89]
	s_cbranch_execz .LBB4_274
; %bb.273:                              ;   in Loop: Header=BB4_115 Depth=3
	v_ffbh_u32_e32 v5, v6
	v_min_u32_e32 v5, 32, v5
	v_subrev_u32_e32 v17, 29, v5
	v_bfe_u32 v3, v58, 18, 5
	v_lshlrev_b64 v[27:28], v17, v[0:1]
	v_sub_u32_e32 v5, 30, v5
	v_cmp_eq_u32_e32 vcc, 0, v3
	v_lshlrev_b32_e32 v0, 24, v0
	v_and_b32_e32 v17, 3, v27
	v_cndmask_b32_e32 v3, v3, v5, vcc
	v_and_b32_e32 v0, 0x80000000, v0
	v_cndmask_b32_e32 v5, v6, v17, vcc
	v_lshl_add_u32 v0, v3, 23, v0
	v_lshl_or_b32 v0, v5, 21, v0
	v_add_u32_e32 v3, 0x38000000, v0
                                        ; implicit-def: $vgpr6
                                        ; implicit-def: $vgpr5
.LBB4_274:                              ;   in Loop: Header=BB4_115 Depth=3
	s_andn2_saveexec_b64 s[88:89], s[88:89]
; %bb.275:                              ;   in Loop: Header=BB4_115 Depth=3
	v_cmp_gt_i16_sdwa vcc, sext(v5), v43 src0_sel:BYTE_0 src1_sel:DWORD
	v_cndmask_b32_e32 v0, v8, v54, vcc
	v_cmp_eq_u32_e32 vcc, 0, v6
	v_cndmask_b32_e32 v3, v55, v0, vcc
; %bb.276:                              ;   in Loop: Header=BB4_115 Depth=3
	s_or_b64 exec, exec, s[88:89]
.LBB4_277:                              ;   in Loop: Header=BB4_115 Depth=3
	s_or_b64 exec, exec, s[78:79]
.LBB4_278:                              ;   in Loop: Header=BB4_115 Depth=3
	s_or_b64 exec, exec, s[20:21]
	v_max_f32_e32 v0, v3, v3
	v_max_f32_e32 v2, v2, v2
	v_min_f32_e32 v5, v2, v0
.LBB4_279:                              ;   in Loop: Header=BB4_115 Depth=3
	s_or_b64 exec, exec, s[76:77]
	v_and_b32_e32 v27, 0x7f800000, v5
	v_mov_b32_e32 v28, v59
	v_cmp_ne_u64_e32 vcc, s[58:59], v[27:28]
	v_and_b32_e32 v2, 0x7fffff, v5
	v_mov_b32_e32 v3, v59
                                        ; implicit-def: $vgpr23
	s_and_saveexec_b64 s[20:21], vcc
	s_xor_b64 s[76:77], exec, s[20:21]
	s_cbranch_execz .LBB4_293
; %bb.280:                              ;   in Loop: Header=BB4_115 Depth=3
	v_and_b32_e32 v27, 0x7fffffff, v5
	v_mov_b32_e32 v28, v59
	v_cmp_gt_u64_e32 vcc, s[60:61], v[27:28]
	v_and_b32_sdwa v0, v5, s50 dst_sel:DWORD dst_unused:UNUSED_PAD src0_sel:BYTE_3 src1_sel:DWORD
                                        ; implicit-def: $vgpr23
	s_and_saveexec_b64 s[20:21], vcc
	s_xor_b64 s[78:79], exec, s[20:21]
	s_cbranch_execz .LBB4_290
; %bb.281:                              ;   in Loop: Header=BB4_115 Depth=3
	v_mov_b32_e32 v23, 0
	v_cmp_ne_u32_e32 vcc, 0, v5
	s_and_saveexec_b64 s[88:89], vcc
	s_cbranch_execz .LBB4_289
; %bb.282:                              ;   in Loop: Header=BB4_115 Depth=3
	v_bfe_u32 v17, v5, 23, 8
	v_cmp_gt_u32_e64 s[20:21], s51, v17
	v_sub_u32_e32 v5, 0x71, v17
	v_cmp_eq_u32_e32 vcc, 0, v17
	v_cndmask_b32_e64 v5, 0, v5, s[20:21]
	v_cndmask_b32_e32 v20, v5, v25, vcc
	v_or_b32_e32 v6, 0x800000, v2
	v_add_u32_e32 v5, 21, v20
	v_cndmask_b32_e32 v2, v6, v2, vcc
	v_lshlrev_b64 v[5:6], v5, -1
	v_add_u32_e32 v23, 20, v20
	v_bfi_b32 v5, v5, 0, v2
	v_lshlrev_b64 v[27:28], v23, 1
	v_lshrrev_b64 v[2:3], v20, v[2:3]
	v_bfi_b32 v6, v6, 0, 0
	v_cmp_eq_u64_e64 s[20:21], v[5:6], v[27:28]
	v_mov_b32_e32 v6, v3
	v_mov_b32_e32 v5, v2
	s_and_saveexec_b64 s[90:91], s[20:21]
; %bb.283:                              ;   in Loop: Header=BB4_115 Depth=3
	v_bfe_u32 v3, v2, 21, 1
	v_add_co_u32_e64 v3, s[20:21], v2, v3
	v_add_co_u32_e64 v5, s[20:21], -1, v3
; %bb.284:                              ;   in Loop: Header=BB4_115 Depth=3
	s_or_b64 exec, exec, s[90:91]
	v_add_u32_e32 v3, 0xffffff81, v17
	v_cndmask_b32_e32 v3, v3, v48, vcc
	v_lshrrev_b32_e32 v6, 23, v2
	v_add3_u32 v17, v20, v3, v6
	v_add_u32_e32 v6, 14, v17
	v_and_b32_e32 v3, 0x1fffff, v5
	v_add_u32_e32 v2, v3, v2
	v_mov_b32_e32 v3, v59
	v_cmp_ne_u32_e32 vcc, 0, v6
                                        ; implicit-def: $vgpr5
	s_and_saveexec_b64 s[20:21], vcc
	s_xor_b64 s[20:21], exec, s[20:21]
; %bb.285:                              ;   in Loop: Header=BB4_115 Depth=3
	v_cmp_lt_u64_e32 vcc, s[62:63], v[2:3]
	v_add_u32_e32 v5, 15, v17
	v_cndmask_b32_e32 v5, v6, v5, vcc
	v_cndmask_b32_e64 v6, 0, 1, vcc
	v_lshrrev_b64 v[2:3], v6, v[2:3]
; %bb.286:                              ;   in Loop: Header=BB4_115 Depth=3
	s_andn2_saveexec_b64 s[20:21], s[20:21]
; %bb.287:                              ;   in Loop: Header=BB4_115 Depth=3
	v_bfe_u32 v5, v2, 23, 1
; %bb.288:                              ;   in Loop: Header=BB4_115 Depth=3
	s_or_b64 exec, exec, s[20:21]
	v_lshrrev_b64 v[2:3], 21, v[2:3]
	v_cmp_gt_i32_e32 vcc, 32, v5
	v_cndmask_b32_e32 v3, 0, v3, vcc
	v_cndmask_b32_e32 v2, 3, v2, vcc
	v_cmp_eq_u64_e64 s[20:21], 0, v[2:3]
	v_min_i32_e32 v3, 31, v5
	v_lshlrev_b32_e32 v3, 2, v3
	v_cmp_eq_u32_e32 vcc, 0, v5
	v_and_b32_e32 v3, 0xfc, v3
	v_and_or_b32 v2, v2, 3, v3
	s_and_b64 s[20:21], vcc, s[20:21]
	v_cndmask_b32_e64 v2, v2, 0, s[20:21]
	v_or_b32_e32 v23, v2, v0
.LBB4_289:                              ;   in Loop: Header=BB4_115 Depth=3
	s_or_b64 exec, exec, s[88:89]
                                        ; implicit-def: $vgpr0
.LBB4_290:                              ;   in Loop: Header=BB4_115 Depth=3
	s_andn2_saveexec_b64 s[20:21], s[78:79]
; %bb.291:                              ;   in Loop: Header=BB4_115 Depth=3
	v_or_b32_e32 v23, 0x7b, v0
; %bb.292:                              ;   in Loop: Header=BB4_115 Depth=3
	s_or_b64 exec, exec, s[20:21]
                                        ; implicit-def: $vgpr5
                                        ; implicit-def: $vgpr2_vgpr3
.LBB4_293:                              ;   in Loop: Header=BB4_115 Depth=3
	s_andn2_saveexec_b64 s[20:21], s[76:77]
	s_cbranch_execz .LBB4_299
; %bb.294:                              ;   in Loop: Header=BB4_115 Depth=3
	v_cmp_ne_u64_e32 vcc, 0, v[2:3]
                                        ; implicit-def: $vgpr23
	s_and_saveexec_b64 s[76:77], vcc
	s_xor_b64 s[76:77], exec, s[76:77]
; %bb.295:                              ;   in Loop: Header=BB4_115 Depth=3
	v_or_b32_sdwa v23, v5, s52 dst_sel:DWORD dst_unused:UNUSED_PAD src0_sel:BYTE_3 src1_sel:DWORD
                                        ; implicit-def: $vgpr5
; %bb.296:                              ;   in Loop: Header=BB4_115 Depth=3
	s_andn2_saveexec_b64 s[76:77], s[76:77]
; %bb.297:                              ;   in Loop: Header=BB4_115 Depth=3
	v_cmp_lt_i32_e32 vcc, -1, v5
	v_cndmask_b32_e32 v23, v49, v31, vcc
; %bb.298:                              ;   in Loop: Header=BB4_115 Depth=3
	s_or_b64 exec, exec, s[76:77]
.LBB4_299:                              ;   in Loop: Header=BB4_115 Depth=3
	s_or_b64 exec, exec, s[20:21]
	v_lshrrev_b32_e32 v17, 24, v19
	v_lshrrev_b32_e32 v0, 24, v58
	v_cmp_lt_u32_e32 vcc, s57, v19
                                        ; implicit-def: $vgpr2
	s_and_saveexec_b64 s[20:21], s[14:15]
	s_xor_b64 s[76:77], exec, s[20:21]
	s_cbranch_execz .LBB4_317
; %bb.300:                              ;   in Loop: Header=BB4_115 Depth=3
	v_mov_b32_e32 v3, 0
	v_mov_b32_e32 v2, 0
	s_and_saveexec_b64 s[78:79], vcc
	s_cbranch_execz .LBB4_308
; %bb.301:                              ;   in Loop: Header=BB4_115 Depth=3
	v_cmp_ne_u32_e64 s[20:21], s50, v17
	v_bfrev_b32_e32 v2, 1
	s_and_saveexec_b64 s[88:89], s[20:21]
	s_cbranch_execz .LBB4_307
; %bb.302:                              ;   in Loop: Header=BB4_115 Depth=3
	v_and_b32_e32 v2, 0x7c000000, v19
	v_bfe_u32 v5, v19, 24, 2
	v_cmp_ne_u32_e64 s[20:21], s54, v2
                                        ; implicit-def: $vgpr2
	s_and_saveexec_b64 s[90:91], s[20:21]
	s_xor_b64 s[90:91], exec, s[90:91]
	s_cbranch_execz .LBB4_304
; %bb.303:                              ;   in Loop: Header=BB4_115 Depth=3
	v_ffbh_u32_e32 v6, v5
	v_min_u32_e32 v6, 32, v6
	v_subrev_u32_e32 v20, 29, v6
	v_bfe_u32 v2, v19, 26, 5
	v_lshlrev_b64 v[27:28], v20, v[17:18]
	v_sub_u32_e32 v6, 30, v6
	v_cmp_eq_u32_e64 s[20:21], 0, v2
	v_and_b32_e32 v17, 3, v27
	v_cndmask_b32_e64 v2, v2, v6, s[20:21]
	v_and_b32_e32 v6, 0x80000000, v19
	v_cndmask_b32_e64 v5, v5, v17, s[20:21]
	v_lshl_add_u32 v2, v2, 23, v6
	v_lshl_or_b32 v2, v5, 21, v2
	v_add_u32_e32 v2, 0x38000000, v2
                                        ; implicit-def: $vgpr5
.LBB4_304:                              ;   in Loop: Header=BB4_115 Depth=3
	s_andn2_saveexec_b64 s[90:91], s[90:91]
; %bb.305:                              ;   in Loop: Header=BB4_115 Depth=3
	v_cmp_lt_i32_e64 s[20:21], -1, v19
	v_cndmask_b32_e64 v2, v8, v54, s[20:21]
	v_cmp_eq_u32_e64 s[20:21], 0, v5
	v_cndmask_b32_e64 v2, v55, v2, s[20:21]
; %bb.306:                              ;   in Loop: Header=BB4_115 Depth=3
	s_or_b64 exec, exec, s[90:91]
.LBB4_307:                              ;   in Loop: Header=BB4_115 Depth=3
	s_or_b64 exec, exec, s[88:89]
.LBB4_308:                              ;   in Loop: Header=BB4_115 Depth=3
	s_or_b64 exec, exec, s[78:79]
	v_cmp_lt_u32_e64 s[20:21], s57, v58
	s_and_saveexec_b64 s[78:79], s[20:21]
	s_cbranch_execz .LBB4_316
; %bb.309:                              ;   in Loop: Header=BB4_115 Depth=3
	v_cmp_ne_u32_e64 s[20:21], s50, v0
	v_bfrev_b32_e32 v3, 1
	s_and_saveexec_b64 s[88:89], s[20:21]
	s_cbranch_execz .LBB4_315
; %bb.310:                              ;   in Loop: Header=BB4_115 Depth=3
	v_and_b32_e32 v3, 0x7c000000, v58
	v_bfe_u32 v5, v58, 24, 2
	v_cmp_ne_u32_e64 s[20:21], s54, v3
                                        ; implicit-def: $vgpr3
	s_and_saveexec_b64 s[90:91], s[20:21]
	s_xor_b64 s[90:91], exec, s[90:91]
	s_cbranch_execz .LBB4_312
; %bb.311:                              ;   in Loop: Header=BB4_115 Depth=3
	v_ffbh_u32_e32 v6, v5
	v_min_u32_e32 v6, 32, v6
	v_subrev_u32_e32 v17, 29, v6
	v_lshlrev_b64 v[19:20], v17, v[0:1]
	v_bfe_u32 v3, v58, 26, 5
	v_sub_u32_e32 v0, 30, v6
	v_and_b32_e32 v6, 3, v19
	v_cmp_eq_u32_e64 s[20:21], 0, v3
	v_cndmask_b32_e64 v0, v3, v0, s[20:21]
	v_cndmask_b32_e64 v3, v5, v6, s[20:21]
	v_and_b32_e32 v5, 0x80000000, v58
	v_lshl_add_u32 v0, v0, 23, v5
	v_lshl_or_b32 v0, v3, 21, v0
	v_add_u32_e32 v3, 0x38000000, v0
                                        ; implicit-def: $vgpr5
.LBB4_312:                              ;   in Loop: Header=BB4_115 Depth=3
	s_andn2_saveexec_b64 s[90:91], s[90:91]
; %bb.313:                              ;   in Loop: Header=BB4_115 Depth=3
	v_cmp_lt_i32_e64 s[20:21], -1, v58
	v_cndmask_b32_e64 v0, v8, v54, s[20:21]
	v_cmp_eq_u32_e64 s[20:21], 0, v5
	v_cndmask_b32_e64 v3, v55, v0, s[20:21]
; %bb.314:                              ;   in Loop: Header=BB4_115 Depth=3
	s_or_b64 exec, exec, s[90:91]
.LBB4_315:                              ;   in Loop: Header=BB4_115 Depth=3
	s_or_b64 exec, exec, s[88:89]
.LBB4_316:                              ;   in Loop: Header=BB4_115 Depth=3
	s_or_b64 exec, exec, s[78:79]
	v_max_f32_e32 v0, v3, v3
	v_max_f32_e32 v2, v2, v2
	;; [unrolled: 1-line block ×3, first 2 shown]
                                        ; implicit-def: $vgpr0
                                        ; implicit-def: $vgpr17
.LBB4_317:                              ;   in Loop: Header=BB4_115 Depth=3
	s_andn2_saveexec_b64 s[20:21], s[76:77]
	s_cbranch_execz .LBB4_335
; %bb.318:                              ;   in Loop: Header=BB4_115 Depth=3
	v_mov_b32_e32 v3, 0
	v_mov_b32_e32 v2, 0
	s_and_saveexec_b64 s[76:77], vcc
	s_cbranch_execz .LBB4_326
; %bb.319:                              ;   in Loop: Header=BB4_115 Depth=3
	v_cmp_ne_u32_e32 vcc, s50, v17
	v_bfrev_b32_e32 v2, 1
	s_and_saveexec_b64 s[78:79], vcc
	s_cbranch_execz .LBB4_325
; %bb.320:                              ;   in Loop: Header=BB4_115 Depth=3
	v_and_b32_e32 v2, 0x7c000000, v19
	v_bfe_u32 v5, v19, 24, 2
	v_cmp_ne_u32_e32 vcc, s54, v2
                                        ; implicit-def: $vgpr2
	s_and_saveexec_b64 s[88:89], vcc
	s_xor_b64 s[88:89], exec, s[88:89]
	s_cbranch_execz .LBB4_322
; %bb.321:                              ;   in Loop: Header=BB4_115 Depth=3
	v_ffbh_u32_e32 v6, v5
	v_min_u32_e32 v6, 32, v6
	v_subrev_u32_e32 v20, 29, v6
	v_bfe_u32 v2, v19, 26, 5
	v_lshlrev_b64 v[27:28], v20, v[17:18]
	v_sub_u32_e32 v6, 30, v6
	v_cmp_eq_u32_e32 vcc, 0, v2
	v_and_b32_e32 v17, 3, v27
	v_cndmask_b32_e32 v2, v2, v6, vcc
	v_and_b32_e32 v6, 0x80000000, v19
	v_cndmask_b32_e32 v5, v5, v17, vcc
	v_lshl_add_u32 v2, v2, 23, v6
	v_lshl_or_b32 v2, v5, 21, v2
	v_add_u32_e32 v2, 0x38000000, v2
                                        ; implicit-def: $vgpr5
.LBB4_322:                              ;   in Loop: Header=BB4_115 Depth=3
	s_andn2_saveexec_b64 s[88:89], s[88:89]
; %bb.323:                              ;   in Loop: Header=BB4_115 Depth=3
	v_cmp_lt_i32_e32 vcc, -1, v19
	v_cndmask_b32_e32 v2, v8, v54, vcc
	v_cmp_eq_u32_e32 vcc, 0, v5
	v_cndmask_b32_e32 v2, v55, v2, vcc
; %bb.324:                              ;   in Loop: Header=BB4_115 Depth=3
	s_or_b64 exec, exec, s[88:89]
.LBB4_325:                              ;   in Loop: Header=BB4_115 Depth=3
	s_or_b64 exec, exec, s[78:79]
.LBB4_326:                              ;   in Loop: Header=BB4_115 Depth=3
	s_or_b64 exec, exec, s[76:77]
	v_cmp_lt_u32_e32 vcc, s57, v58
	s_and_saveexec_b64 s[76:77], vcc
	s_cbranch_execz .LBB4_334
; %bb.327:                              ;   in Loop: Header=BB4_115 Depth=3
	v_cmp_ne_u32_e32 vcc, s50, v0
	v_bfrev_b32_e32 v3, 1
	s_and_saveexec_b64 s[78:79], vcc
	s_cbranch_execz .LBB4_333
; %bb.328:                              ;   in Loop: Header=BB4_115 Depth=3
	v_and_b32_e32 v3, 0x7c000000, v58
	v_bfe_u32 v5, v58, 24, 2
	v_cmp_ne_u32_e32 vcc, s54, v3
                                        ; implicit-def: $vgpr3
	s_and_saveexec_b64 s[88:89], vcc
	s_xor_b64 s[88:89], exec, s[88:89]
	s_cbranch_execz .LBB4_330
; %bb.329:                              ;   in Loop: Header=BB4_115 Depth=3
	v_ffbh_u32_e32 v6, v5
	v_min_u32_e32 v6, 32, v6
	v_subrev_u32_e32 v17, 29, v6
	v_lshlrev_b64 v[19:20], v17, v[0:1]
	v_bfe_u32 v3, v58, 26, 5
	v_sub_u32_e32 v0, 30, v6
	v_and_b32_e32 v6, 3, v19
	v_cmp_eq_u32_e32 vcc, 0, v3
	v_cndmask_b32_e32 v0, v3, v0, vcc
	v_cndmask_b32_e32 v3, v5, v6, vcc
	v_and_b32_e32 v5, 0x80000000, v58
	v_lshl_add_u32 v0, v0, 23, v5
	v_lshl_or_b32 v0, v3, 21, v0
	v_add_u32_e32 v3, 0x38000000, v0
                                        ; implicit-def: $vgpr5
.LBB4_330:                              ;   in Loop: Header=BB4_115 Depth=3
	s_andn2_saveexec_b64 s[88:89], s[88:89]
; %bb.331:                              ;   in Loop: Header=BB4_115 Depth=3
	v_cmp_lt_i32_e32 vcc, -1, v58
	v_cndmask_b32_e32 v0, v8, v54, vcc
	v_cmp_eq_u32_e32 vcc, 0, v5
	v_cndmask_b32_e32 v3, v55, v0, vcc
; %bb.332:                              ;   in Loop: Header=BB4_115 Depth=3
	s_or_b64 exec, exec, s[88:89]
.LBB4_333:                              ;   in Loop: Header=BB4_115 Depth=3
	s_or_b64 exec, exec, s[78:79]
.LBB4_334:                              ;   in Loop: Header=BB4_115 Depth=3
	s_or_b64 exec, exec, s[76:77]
	v_max_f32_e32 v0, v3, v3
	v_max_f32_e32 v2, v2, v2
	v_min_f32_e32 v2, v2, v0
.LBB4_335:                              ;   in Loop: Header=BB4_115 Depth=3
	s_or_b64 exec, exec, s[20:21]
	v_and_b32_e32 v5, 0x7f800000, v2
	v_mov_b32_e32 v6, v59
	v_cmp_ne_u64_e32 vcc, s[58:59], v[5:6]
	v_and_b32_e32 v58, 0x7fffff, v2
                                        ; implicit-def: $vgpr37
	s_and_saveexec_b64 s[20:21], vcc
	s_xor_b64 s[76:77], exec, s[20:21]
	s_cbranch_execz .LBB4_349
; %bb.336:                              ;   in Loop: Header=BB4_115 Depth=3
	v_and_b32_e32 v5, 0x7fffffff, v2
	v_mov_b32_e32 v6, v59
	v_cmp_gt_u64_e32 vcc, s[60:61], v[5:6]
	v_and_b32_sdwa v0, v2, s50 dst_sel:DWORD dst_unused:UNUSED_PAD src0_sel:BYTE_3 src1_sel:DWORD
                                        ; implicit-def: $vgpr37
	s_and_saveexec_b64 s[20:21], vcc
	s_xor_b64 s[78:79], exec, s[20:21]
	s_cbranch_execz .LBB4_346
; %bb.337:                              ;   in Loop: Header=BB4_115 Depth=3
	v_mov_b32_e32 v37, 0
	v_cmp_ne_u32_e32 vcc, 0, v2
	s_and_saveexec_b64 s[88:89], vcc
	s_cbranch_execz .LBB4_345
; %bb.338:                              ;   in Loop: Header=BB4_115 Depth=3
	v_bfe_u32 v17, v2, 23, 8
	v_cmp_gt_u32_e64 s[20:21], s51, v17
	v_sub_u32_e32 v2, 0x71, v17
	v_cmp_eq_u32_e32 vcc, 0, v17
	v_cndmask_b32_e64 v2, 0, v2, s[20:21]
	v_cndmask_b32_e32 v19, v2, v25, vcc
	v_or_b32_e32 v3, 0x800000, v58
	v_add_u32_e32 v2, 21, v19
	v_cndmask_b32_e32 v58, v3, v58, vcc
	v_lshlrev_b64 v[2:3], v2, -1
	v_add_u32_e32 v5, 20, v19
	v_lshlrev_b64 v[5:6], v5, 1
	v_bfi_b32 v3, v3, 0, 0
	v_bfi_b32 v2, v2, 0, v58
	v_cmp_eq_u64_e64 s[20:21], v[2:3], v[5:6]
	v_lshrrev_b64 v[2:3], v19, v[58:59]
	v_mov_b32_e32 v6, v3
	v_mov_b32_e32 v5, v2
	s_and_saveexec_b64 s[90:91], s[20:21]
; %bb.339:                              ;   in Loop: Header=BB4_115 Depth=3
	v_bfe_u32 v3, v2, 21, 1
	v_add_co_u32_e64 v3, s[20:21], v2, v3
	v_add_co_u32_e64 v5, s[20:21], -1, v3
; %bb.340:                              ;   in Loop: Header=BB4_115 Depth=3
	s_or_b64 exec, exec, s[90:91]
	v_add_u32_e32 v3, 0xffffff81, v17
	v_cndmask_b32_e32 v3, v3, v48, vcc
	v_lshrrev_b32_e32 v6, 23, v2
	v_add3_u32 v17, v19, v3, v6
	v_add_u32_e32 v6, 14, v17
	v_and_b32_e32 v3, 0x1fffff, v5
	v_add_u32_e32 v58, v3, v2
	v_cmp_ne_u32_e32 vcc, 0, v6
                                        ; implicit-def: $vgpr2_vgpr3
                                        ; implicit-def: $vgpr5
	s_and_saveexec_b64 s[20:21], vcc
	s_xor_b64 s[20:21], exec, s[20:21]
; %bb.341:                              ;   in Loop: Header=BB4_115 Depth=3
	v_cmp_lt_u64_e32 vcc, s[62:63], v[58:59]
	v_add_u32_e32 v2, 15, v17
	v_cndmask_b32_e32 v5, v6, v2, vcc
	v_cndmask_b32_e64 v2, 0, 1, vcc
	v_lshrrev_b64 v[2:3], v2, v[58:59]
; %bb.342:                              ;   in Loop: Header=BB4_115 Depth=3
	s_andn2_saveexec_b64 s[20:21], s[20:21]
; %bb.343:                              ;   in Loop: Header=BB4_115 Depth=3
	v_mov_b32_e32 v2, v58
	v_bfe_u32 v5, v58, 23, 1
	v_mov_b32_e32 v3, v59
; %bb.344:                              ;   in Loop: Header=BB4_115 Depth=3
	s_or_b64 exec, exec, s[20:21]
	v_lshrrev_b64 v[2:3], 21, v[2:3]
	v_cmp_gt_i32_e32 vcc, 32, v5
	v_cndmask_b32_e32 v3, 0, v3, vcc
	v_cndmask_b32_e32 v2, 3, v2, vcc
	v_cmp_eq_u64_e64 s[20:21], 0, v[2:3]
	v_min_i32_e32 v3, 31, v5
	v_lshlrev_b32_e32 v3, 2, v3
	v_cmp_eq_u32_e32 vcc, 0, v5
	v_and_b32_e32 v3, 0xfc, v3
	v_and_or_b32 v2, v2, 3, v3
	s_and_b64 s[20:21], vcc, s[20:21]
	v_cndmask_b32_e64 v2, v2, 0, s[20:21]
	v_or_b32_e32 v37, v2, v0
.LBB4_345:                              ;   in Loop: Header=BB4_115 Depth=3
	s_or_b64 exec, exec, s[88:89]
                                        ; implicit-def: $vgpr0
.LBB4_346:                              ;   in Loop: Header=BB4_115 Depth=3
	s_andn2_saveexec_b64 s[20:21], s[78:79]
; %bb.347:                              ;   in Loop: Header=BB4_115 Depth=3
	v_or_b32_e32 v37, 0x7b, v0
; %bb.348:                              ;   in Loop: Header=BB4_115 Depth=3
	s_or_b64 exec, exec, s[20:21]
                                        ; implicit-def: $vgpr2
.LBB4_349:                              ;   in Loop: Header=BB4_115 Depth=3
	s_andn2_saveexec_b64 s[20:21], s[76:77]
	s_cbranch_execz .LBB4_355
; %bb.350:                              ;   in Loop: Header=BB4_115 Depth=3
	v_cmp_ne_u64_e32 vcc, 0, v[58:59]
                                        ; implicit-def: $vgpr37
	s_and_saveexec_b64 s[76:77], vcc
	s_xor_b64 s[76:77], exec, s[76:77]
; %bb.351:                              ;   in Loop: Header=BB4_115 Depth=3
	v_or_b32_sdwa v37, v2, s52 dst_sel:DWORD dst_unused:UNUSED_PAD src0_sel:BYTE_3 src1_sel:DWORD
                                        ; implicit-def: $vgpr2
; %bb.352:                              ;   in Loop: Header=BB4_115 Depth=3
	s_andn2_saveexec_b64 s[76:77], s[76:77]
; %bb.353:                              ;   in Loop: Header=BB4_115 Depth=3
	v_cmp_lt_i32_e32 vcc, -1, v2
	v_cndmask_b32_e32 v37, v49, v31, vcc
; %bb.354:                              ;   in Loop: Header=BB4_115 Depth=3
	s_or_b64 exec, exec, s[76:77]
.LBB4_355:                              ;   in Loop: Header=BB4_115 Depth=3
	s_or_b64 exec, exec, s[20:21]
	v_alignbit_b32 v58, v24, v36, v38
	v_cmp_ne_u16_sdwa s[20:21], v21, v59 src0_sel:BYTE_0 src1_sel:DWORD
                                        ; implicit-def: $vgpr5
	s_and_saveexec_b64 s[76:77], s[14:15]
	s_xor_b64 s[76:77], exec, s[76:77]
	s_cbranch_execz .LBB4_373
; %bb.356:                              ;   in Loop: Header=BB4_115 Depth=3
	v_mov_b32_e32 v2, 0
	v_mov_b32_e32 v0, 0
	s_and_saveexec_b64 s[78:79], s[20:21]
	s_cbranch_execz .LBB4_364
; %bb.357:                              ;   in Loop: Header=BB4_115 Depth=3
	v_cmp_ne_u16_sdwa s[90:91], sext(v21), s48 src0_sel:BYTE_0 src1_sel:DWORD
	v_bfrev_b32_e32 v0, 1
	s_and_saveexec_b64 s[88:89], s[90:91]
	s_cbranch_execz .LBB4_363
; %bb.358:                              ;   in Loop: Header=BB4_115 Depth=3
	v_and_b32_e32 v0, 0x7c, v21
	v_and_b32_e32 v3, 3, v21
	v_cmp_ne_u32_e32 vcc, s49, v0
                                        ; implicit-def: $vgpr0
	s_and_saveexec_b64 s[90:91], vcc
	s_xor_b64 s[90:91], exec, s[90:91]
	s_cbranch_execz .LBB4_360
; %bb.359:                              ;   in Loop: Header=BB4_115 Depth=3
	v_ffbh_u32_e32 v5, v3
	v_min_u32_e32 v17, 32, v5
	v_subrev_u32_e32 v5, 29, v17
	v_lshlrev_b64 v[5:6], v5, v[21:22]
	v_bfe_u32 v0, v21, 2, 5
	v_and_b32_e32 v5, 3, v5
	v_cmp_eq_u32_e32 vcc, 0, v0
	v_sub_u32_e32 v6, 30, v17
	v_cndmask_b32_e32 v3, v3, v5, vcc
	v_lshlrev_b32_e32 v5, 24, v21
	v_cndmask_b32_e32 v0, v0, v6, vcc
	v_and_b32_e32 v5, 0x80000000, v5
	v_lshl_add_u32 v0, v0, 23, v5
	v_lshl_or_b32 v0, v3, 21, v0
	v_add_u32_e32 v0, 0x38000000, v0
                                        ; implicit-def: $vgpr3
.LBB4_360:                              ;   in Loop: Header=BB4_115 Depth=3
	s_andn2_saveexec_b64 s[90:91], s[90:91]
; %bb.361:                              ;   in Loop: Header=BB4_115 Depth=3
	v_cmp_gt_i16_sdwa vcc, sext(v21), v43 src0_sel:BYTE_0 src1_sel:DWORD
	v_cndmask_b32_e32 v0, v8, v54, vcc
	v_cmp_eq_u32_e32 vcc, 0, v3
	v_cndmask_b32_e32 v0, v55, v0, vcc
; %bb.362:                              ;   in Loop: Header=BB4_115 Depth=3
	s_or_b64 exec, exec, s[90:91]
.LBB4_363:                              ;   in Loop: Header=BB4_115 Depth=3
	s_or_b64 exec, exec, s[88:89]
.LBB4_364:                              ;   in Loop: Header=BB4_115 Depth=3
	s_or_b64 exec, exec, s[78:79]
	v_cmp_ne_u16_sdwa s[88:89], sext(v58), v59 src0_sel:BYTE_0 src1_sel:DWORD
	s_and_saveexec_b64 s[78:79], s[88:89]
	s_cbranch_execz .LBB4_372
; %bb.365:                              ;   in Loop: Header=BB4_115 Depth=3
	v_cmp_ne_u16_sdwa s[90:91], sext(v58), s48 src0_sel:BYTE_0 src1_sel:DWORD
	v_bfrev_b32_e32 v2, 1
	s_and_saveexec_b64 s[88:89], s[90:91]
	s_cbranch_execz .LBB4_371
; %bb.366:                              ;   in Loop: Header=BB4_115 Depth=3
	v_and_b32_e32 v2, 0x7c, v58
	v_and_b32_e32 v3, 3, v58
	v_cmp_ne_u32_e32 vcc, s49, v2
                                        ; implicit-def: $vgpr2
	s_and_saveexec_b64 s[90:91], vcc
	s_xor_b64 s[90:91], exec, s[90:91]
	s_cbranch_execz .LBB4_368
; %bb.367:                              ;   in Loop: Header=BB4_115 Depth=3
	v_ffbh_u32_e32 v5, v3
	v_min_u32_e32 v17, 32, v5
	v_subrev_u32_e32 v5, 29, v17
	v_lshlrev_b64 v[5:6], v5, v[58:59]
	v_bfe_u32 v2, v58, 2, 5
	v_and_b32_e32 v5, 3, v5
	v_cmp_eq_u32_e32 vcc, 0, v2
	v_sub_u32_e32 v6, 30, v17
	v_cndmask_b32_e32 v3, v3, v5, vcc
	v_lshlrev_b32_e32 v5, 24, v58
	v_cndmask_b32_e32 v2, v2, v6, vcc
	v_and_b32_e32 v5, 0x80000000, v5
	v_lshl_add_u32 v2, v2, 23, v5
	v_lshl_or_b32 v2, v3, 21, v2
	v_add_u32_e32 v2, 0x38000000, v2
                                        ; implicit-def: $vgpr3
.LBB4_368:                              ;   in Loop: Header=BB4_115 Depth=3
	s_andn2_saveexec_b64 s[90:91], s[90:91]
; %bb.369:                              ;   in Loop: Header=BB4_115 Depth=3
	v_cmp_gt_i16_sdwa vcc, sext(v58), v43 src0_sel:BYTE_0 src1_sel:DWORD
	v_cndmask_b32_e32 v2, v8, v54, vcc
	v_cmp_eq_u32_e32 vcc, 0, v3
	v_cndmask_b32_e32 v2, v55, v2, vcc
; %bb.370:                              ;   in Loop: Header=BB4_115 Depth=3
	s_or_b64 exec, exec, s[90:91]
.LBB4_371:                              ;   in Loop: Header=BB4_115 Depth=3
	s_or_b64 exec, exec, s[88:89]
.LBB4_372:                              ;   in Loop: Header=BB4_115 Depth=3
	s_or_b64 exec, exec, s[78:79]
	v_max_f32_e32 v2, v2, v2
	v_max_f32_e32 v0, v0, v0
	;; [unrolled: 1-line block ×3, first 2 shown]
.LBB4_373:                              ;   in Loop: Header=BB4_115 Depth=3
	s_andn2_saveexec_b64 s[76:77], s[76:77]
	s_cbranch_execz .LBB4_391
; %bb.374:                              ;   in Loop: Header=BB4_115 Depth=3
	v_mov_b32_e32 v2, 0
	v_mov_b32_e32 v0, 0
	s_and_saveexec_b64 s[78:79], s[20:21]
	s_cbranch_execz .LBB4_382
; %bb.375:                              ;   in Loop: Header=BB4_115 Depth=3
	v_cmp_ne_u16_sdwa s[88:89], sext(v21), s48 src0_sel:BYTE_0 src1_sel:DWORD
	v_bfrev_b32_e32 v0, 1
	s_and_saveexec_b64 s[20:21], s[88:89]
	s_cbranch_execz .LBB4_381
; %bb.376:                              ;   in Loop: Header=BB4_115 Depth=3
	v_and_b32_e32 v0, 0x7c, v21
	v_and_b32_e32 v3, 3, v21
	v_cmp_ne_u32_e32 vcc, s49, v0
                                        ; implicit-def: $vgpr0
	s_and_saveexec_b64 s[88:89], vcc
	s_xor_b64 s[88:89], exec, s[88:89]
	s_cbranch_execz .LBB4_378
; %bb.377:                              ;   in Loop: Header=BB4_115 Depth=3
	v_ffbh_u32_e32 v5, v3
	v_min_u32_e32 v17, 32, v5
	v_subrev_u32_e32 v5, 29, v17
	v_lshlrev_b64 v[5:6], v5, v[21:22]
	v_bfe_u32 v0, v21, 2, 5
	v_and_b32_e32 v5, 3, v5
	v_cmp_eq_u32_e32 vcc, 0, v0
	v_sub_u32_e32 v6, 30, v17
	v_cndmask_b32_e32 v3, v3, v5, vcc
	v_lshlrev_b32_e32 v5, 24, v21
	v_cndmask_b32_e32 v0, v0, v6, vcc
	v_and_b32_e32 v5, 0x80000000, v5
	v_lshl_add_u32 v0, v0, 23, v5
	v_lshl_or_b32 v0, v3, 21, v0
	v_add_u32_e32 v0, 0x38000000, v0
                                        ; implicit-def: $vgpr3
.LBB4_378:                              ;   in Loop: Header=BB4_115 Depth=3
	s_andn2_saveexec_b64 s[88:89], s[88:89]
; %bb.379:                              ;   in Loop: Header=BB4_115 Depth=3
	v_cmp_gt_i16_sdwa vcc, sext(v21), v43 src0_sel:BYTE_0 src1_sel:DWORD
	v_cndmask_b32_e32 v0, v8, v54, vcc
	v_cmp_eq_u32_e32 vcc, 0, v3
	v_cndmask_b32_e32 v0, v55, v0, vcc
; %bb.380:                              ;   in Loop: Header=BB4_115 Depth=3
	s_or_b64 exec, exec, s[88:89]
.LBB4_381:                              ;   in Loop: Header=BB4_115 Depth=3
	s_or_b64 exec, exec, s[20:21]
.LBB4_382:                              ;   in Loop: Header=BB4_115 Depth=3
	s_or_b64 exec, exec, s[78:79]
	v_cmp_ne_u16_sdwa s[78:79], sext(v58), v59 src0_sel:BYTE_0 src1_sel:DWORD
	s_and_saveexec_b64 s[20:21], s[78:79]
	s_cbranch_execz .LBB4_390
; %bb.383:                              ;   in Loop: Header=BB4_115 Depth=3
	v_cmp_ne_u16_sdwa s[88:89], sext(v58), s48 src0_sel:BYTE_0 src1_sel:DWORD
	v_bfrev_b32_e32 v2, 1
	s_and_saveexec_b64 s[78:79], s[88:89]
	s_cbranch_execz .LBB4_389
; %bb.384:                              ;   in Loop: Header=BB4_115 Depth=3
	v_and_b32_e32 v2, 0x7c, v58
	v_and_b32_e32 v3, 3, v58
	v_cmp_ne_u32_e32 vcc, s49, v2
                                        ; implicit-def: $vgpr2
	s_and_saveexec_b64 s[88:89], vcc
	s_xor_b64 s[88:89], exec, s[88:89]
	s_cbranch_execz .LBB4_386
; %bb.385:                              ;   in Loop: Header=BB4_115 Depth=3
	v_ffbh_u32_e32 v5, v3
	v_min_u32_e32 v17, 32, v5
	v_subrev_u32_e32 v5, 29, v17
	v_lshlrev_b64 v[5:6], v5, v[58:59]
	v_bfe_u32 v2, v58, 2, 5
	v_and_b32_e32 v5, 3, v5
	v_cmp_eq_u32_e32 vcc, 0, v2
	v_sub_u32_e32 v6, 30, v17
	v_cndmask_b32_e32 v3, v3, v5, vcc
	v_lshlrev_b32_e32 v5, 24, v58
	v_cndmask_b32_e32 v2, v2, v6, vcc
	v_and_b32_e32 v5, 0x80000000, v5
	v_lshl_add_u32 v2, v2, 23, v5
	v_lshl_or_b32 v2, v3, 21, v2
	v_add_u32_e32 v2, 0x38000000, v2
                                        ; implicit-def: $vgpr3
.LBB4_386:                              ;   in Loop: Header=BB4_115 Depth=3
	s_andn2_saveexec_b64 s[88:89], s[88:89]
; %bb.387:                              ;   in Loop: Header=BB4_115 Depth=3
	v_cmp_gt_i16_sdwa vcc, sext(v58), v43 src0_sel:BYTE_0 src1_sel:DWORD
	v_cndmask_b32_e32 v2, v8, v54, vcc
	v_cmp_eq_u32_e32 vcc, 0, v3
	v_cndmask_b32_e32 v2, v55, v2, vcc
; %bb.388:                              ;   in Loop: Header=BB4_115 Depth=3
	s_or_b64 exec, exec, s[88:89]
.LBB4_389:                              ;   in Loop: Header=BB4_115 Depth=3
	s_or_b64 exec, exec, s[78:79]
.LBB4_390:                              ;   in Loop: Header=BB4_115 Depth=3
	s_or_b64 exec, exec, s[20:21]
	v_max_f32_e32 v2, v2, v2
	v_max_f32_e32 v0, v0, v0
	v_min_f32_e32 v5, v0, v2
.LBB4_391:                              ;   in Loop: Header=BB4_115 Depth=3
	s_or_b64 exec, exec, s[76:77]
	v_and_b32_e32 v19, 0x7f800000, v5
	v_mov_b32_e32 v20, v59
	v_cmp_ne_u64_e32 vcc, s[58:59], v[19:20]
	v_and_b32_e32 v2, 0x7fffff, v5
	v_mov_b32_e32 v3, v59
                                        ; implicit-def: $vgpr22
	s_and_saveexec_b64 s[20:21], vcc
	s_xor_b64 s[76:77], exec, s[20:21]
	s_cbranch_execz .LBB4_405
; %bb.392:                              ;   in Loop: Header=BB4_115 Depth=3
	v_and_b32_e32 v19, 0x7fffffff, v5
	v_mov_b32_e32 v20, v59
	v_cmp_gt_u64_e32 vcc, s[60:61], v[19:20]
	v_and_b32_sdwa v0, v5, s50 dst_sel:DWORD dst_unused:UNUSED_PAD src0_sel:BYTE_3 src1_sel:DWORD
                                        ; implicit-def: $vgpr22
	s_and_saveexec_b64 s[20:21], vcc
	s_xor_b64 s[78:79], exec, s[20:21]
	s_cbranch_execz .LBB4_402
; %bb.393:                              ;   in Loop: Header=BB4_115 Depth=3
	v_mov_b32_e32 v22, 0
	v_cmp_ne_u32_e32 vcc, 0, v5
	s_and_saveexec_b64 s[88:89], vcc
	s_cbranch_execz .LBB4_401
; %bb.394:                              ;   in Loop: Header=BB4_115 Depth=3
	v_bfe_u32 v17, v5, 23, 8
	v_cmp_gt_u32_e64 s[20:21], s51, v17
	v_sub_u32_e32 v5, 0x71, v17
	v_cmp_eq_u32_e32 vcc, 0, v17
	v_cndmask_b32_e64 v5, 0, v5, s[20:21]
	v_cndmask_b32_e32 v19, v5, v25, vcc
	v_or_b32_e32 v6, 0x800000, v2
	v_add_u32_e32 v5, 21, v19
	v_cndmask_b32_e32 v2, v6, v2, vcc
	v_lshlrev_b64 v[5:6], v5, -1
	v_add_u32_e32 v20, 20, v19
	v_bfi_b32 v5, v5, 0, v2
	v_lshlrev_b64 v[27:28], v20, 1
	v_lshrrev_b64 v[2:3], v19, v[2:3]
	v_bfi_b32 v6, v6, 0, 0
	v_cmp_eq_u64_e64 s[20:21], v[5:6], v[27:28]
	v_mov_b32_e32 v6, v3
	v_mov_b32_e32 v5, v2
	s_and_saveexec_b64 s[90:91], s[20:21]
; %bb.395:                              ;   in Loop: Header=BB4_115 Depth=3
	v_bfe_u32 v3, v2, 21, 1
	v_add_co_u32_e64 v3, s[20:21], v2, v3
	v_add_co_u32_e64 v5, s[20:21], -1, v3
; %bb.396:                              ;   in Loop: Header=BB4_115 Depth=3
	s_or_b64 exec, exec, s[90:91]
	v_add_u32_e32 v3, 0xffffff81, v17
	v_cndmask_b32_e32 v3, v3, v48, vcc
	v_lshrrev_b32_e32 v6, 23, v2
	v_add3_u32 v17, v19, v3, v6
	v_add_u32_e32 v6, 14, v17
	v_and_b32_e32 v3, 0x1fffff, v5
	v_add_u32_e32 v2, v3, v2
	v_mov_b32_e32 v3, v59
	v_cmp_ne_u32_e32 vcc, 0, v6
                                        ; implicit-def: $vgpr5
	s_and_saveexec_b64 s[20:21], vcc
	s_xor_b64 s[20:21], exec, s[20:21]
; %bb.397:                              ;   in Loop: Header=BB4_115 Depth=3
	v_cmp_lt_u64_e32 vcc, s[62:63], v[2:3]
	v_add_u32_e32 v5, 15, v17
	v_cndmask_b32_e32 v5, v6, v5, vcc
	v_cndmask_b32_e64 v6, 0, 1, vcc
	v_lshrrev_b64 v[2:3], v6, v[2:3]
; %bb.398:                              ;   in Loop: Header=BB4_115 Depth=3
	s_andn2_saveexec_b64 s[20:21], s[20:21]
; %bb.399:                              ;   in Loop: Header=BB4_115 Depth=3
	v_bfe_u32 v5, v2, 23, 1
; %bb.400:                              ;   in Loop: Header=BB4_115 Depth=3
	s_or_b64 exec, exec, s[20:21]
	v_lshrrev_b64 v[2:3], 21, v[2:3]
	v_cmp_gt_i32_e32 vcc, 32, v5
	v_cndmask_b32_e32 v3, 0, v3, vcc
	v_cndmask_b32_e32 v2, 3, v2, vcc
	v_cmp_eq_u64_e64 s[20:21], 0, v[2:3]
	v_min_i32_e32 v3, 31, v5
	v_lshlrev_b32_e32 v3, 2, v3
	v_cmp_eq_u32_e32 vcc, 0, v5
	v_and_b32_e32 v3, 0xfc, v3
	v_and_or_b32 v2, v2, 3, v3
	s_and_b64 s[20:21], vcc, s[20:21]
	v_cndmask_b32_e64 v2, v2, 0, s[20:21]
	v_or_b32_e32 v22, v2, v0
.LBB4_401:                              ;   in Loop: Header=BB4_115 Depth=3
	s_or_b64 exec, exec, s[88:89]
                                        ; implicit-def: $vgpr0
.LBB4_402:                              ;   in Loop: Header=BB4_115 Depth=3
	s_andn2_saveexec_b64 s[20:21], s[78:79]
; %bb.403:                              ;   in Loop: Header=BB4_115 Depth=3
	v_or_b32_e32 v22, 0x7b, v0
; %bb.404:                              ;   in Loop: Header=BB4_115 Depth=3
	s_or_b64 exec, exec, s[20:21]
                                        ; implicit-def: $vgpr5
                                        ; implicit-def: $vgpr2_vgpr3
.LBB4_405:                              ;   in Loop: Header=BB4_115 Depth=3
	s_andn2_saveexec_b64 s[20:21], s[76:77]
	s_cbranch_execz .LBB4_411
; %bb.406:                              ;   in Loop: Header=BB4_115 Depth=3
	v_cmp_ne_u64_e32 vcc, 0, v[2:3]
                                        ; implicit-def: $vgpr22
	s_and_saveexec_b64 s[76:77], vcc
	s_xor_b64 s[76:77], exec, s[76:77]
; %bb.407:                              ;   in Loop: Header=BB4_115 Depth=3
	v_or_b32_sdwa v22, v5, s52 dst_sel:DWORD dst_unused:UNUSED_PAD src0_sel:BYTE_3 src1_sel:DWORD
                                        ; implicit-def: $vgpr5
; %bb.408:                              ;   in Loop: Header=BB4_115 Depth=3
	s_andn2_saveexec_b64 s[76:77], s[76:77]
; %bb.409:                              ;   in Loop: Header=BB4_115 Depth=3
	v_cmp_lt_i32_e32 vcc, -1, v5
	v_cndmask_b32_e32 v22, v49, v31, vcc
; %bb.410:                              ;   in Loop: Header=BB4_115 Depth=3
	s_or_b64 exec, exec, s[76:77]
.LBB4_411:                              ;   in Loop: Header=BB4_115 Depth=3
	s_or_b64 exec, exec, s[20:21]
	v_lshrrev_b16_e32 v2, 8, v21
	v_lshrrev_b16_e32 v19, 8, v58
	v_cmp_ne_u16_e32 vcc, 0, v2
                                        ; implicit-def: $vgpr5
	s_and_saveexec_b64 s[20:21], s[14:15]
	s_xor_b64 s[76:77], exec, s[20:21]
	s_cbranch_execz .LBB4_429
; %bb.412:                              ;   in Loop: Header=BB4_115 Depth=3
	v_mov_b32_e32 v5, 0
	v_mov_b32_e32 v0, 0
	s_and_saveexec_b64 s[78:79], vcc
	s_cbranch_execz .LBB4_420
; %bb.413:                              ;   in Loop: Header=BB4_115 Depth=3
	v_cmp_ne_u16_e64 s[20:21], s50, v2
	v_bfrev_b32_e32 v0, 1
	s_and_saveexec_b64 s[88:89], s[20:21]
	s_cbranch_execz .LBB4_419
; %bb.414:                              ;   in Loop: Header=BB4_115 Depth=3
	v_and_b32_e32 v0, 0x7c, v2
	v_and_b32_e32 v6, 3, v2
	v_cmp_ne_u32_e64 s[20:21], s49, v0
                                        ; implicit-def: $vgpr0
	s_and_saveexec_b64 s[90:91], s[20:21]
	s_xor_b64 s[90:91], exec, s[90:91]
	s_cbranch_execz .LBB4_416
; %bb.415:                              ;   in Loop: Header=BB4_115 Depth=3
	v_ffbh_u32_e32 v17, v6
	v_min_u32_e32 v17, 32, v17
	v_mov_b32_e32 v3, v59
	v_subrev_u32_e32 v20, 29, v17
	v_bfe_u32 v0, v2, 2, 5
	v_lshlrev_b64 v[2:3], v20, v[2:3]
	v_sub_u32_e32 v3, 30, v17
	v_cmp_eq_u32_e64 s[20:21], 0, v0
	v_cndmask_b32_e64 v0, v0, v3, s[20:21]
	v_lshlrev_b32_e32 v3, 16, v21
	v_and_b32_e32 v2, 3, v2
	v_and_b32_e32 v3, 0x80000000, v3
	v_cndmask_b32_e64 v2, v6, v2, s[20:21]
	v_lshl_add_u32 v0, v0, 23, v3
	v_lshl_or_b32 v0, v2, 21, v0
	v_add_u32_e32 v0, 0x38000000, v0
                                        ; implicit-def: $vgpr6
.LBB4_416:                              ;   in Loop: Header=BB4_115 Depth=3
	s_andn2_saveexec_b64 s[90:91], s[90:91]
; %bb.417:                              ;   in Loop: Header=BB4_115 Depth=3
	v_cmp_lt_i16_e64 s[20:21], -1, v21
	v_cndmask_b32_e64 v0, v8, v54, s[20:21]
	v_cmp_eq_u32_e64 s[20:21], 0, v6
	v_cndmask_b32_e64 v0, v55, v0, s[20:21]
; %bb.418:                              ;   in Loop: Header=BB4_115 Depth=3
	s_or_b64 exec, exec, s[90:91]
.LBB4_419:                              ;   in Loop: Header=BB4_115 Depth=3
	s_or_b64 exec, exec, s[88:89]
.LBB4_420:                              ;   in Loop: Header=BB4_115 Depth=3
	s_or_b64 exec, exec, s[78:79]
	v_cmp_ne_u16_e64 s[20:21], 0, v19
	s_and_saveexec_b64 s[78:79], s[20:21]
	s_cbranch_execz .LBB4_428
; %bb.421:                              ;   in Loop: Header=BB4_115 Depth=3
	v_cmp_ne_u16_e64 s[20:21], s50, v19
	v_bfrev_b32_e32 v5, 1
	s_and_saveexec_b64 s[88:89], s[20:21]
	s_cbranch_execz .LBB4_427
; %bb.422:                              ;   in Loop: Header=BB4_115 Depth=3
	v_and_b32_e32 v3, 0x7c, v19
	v_and_b32_e32 v2, 3, v19
	v_cmp_ne_u32_e64 s[20:21], s49, v3
                                        ; implicit-def: $vgpr5
	s_and_saveexec_b64 s[90:91], s[20:21]
	s_xor_b64 s[90:91], exec, s[90:91]
	s_cbranch_execz .LBB4_424
; %bb.423:                              ;   in Loop: Header=BB4_115 Depth=3
	v_ffbh_u32_e32 v5, v2
	v_min_u32_e32 v17, 32, v5
	v_mov_b32_e32 v20, v59
	v_subrev_u32_e32 v5, 29, v17
	v_lshlrev_b64 v[5:6], v5, v[19:20]
	v_bfe_u32 v3, v19, 2, 5
	v_and_b32_e32 v5, 3, v5
	v_cmp_eq_u32_e64 s[20:21], 0, v3
	v_sub_u32_e32 v6, 30, v17
	v_cndmask_b32_e64 v2, v2, v5, s[20:21]
	v_lshlrev_b32_e32 v5, 16, v58
	v_cndmask_b32_e64 v3, v3, v6, s[20:21]
	v_and_b32_e32 v5, 0x80000000, v5
	v_lshl_add_u32 v3, v3, 23, v5
	v_lshl_or_b32 v2, v2, 21, v3
	v_add_u32_e32 v5, 0x38000000, v2
                                        ; implicit-def: $vgpr2
.LBB4_424:                              ;   in Loop: Header=BB4_115 Depth=3
	s_andn2_saveexec_b64 s[90:91], s[90:91]
; %bb.425:                              ;   in Loop: Header=BB4_115 Depth=3
	v_cmp_lt_i16_e64 s[20:21], -1, v58
	v_cndmask_b32_e64 v3, v8, v54, s[20:21]
	v_cmp_eq_u32_e64 s[20:21], 0, v2
	v_cndmask_b32_e64 v5, v55, v3, s[20:21]
; %bb.426:                              ;   in Loop: Header=BB4_115 Depth=3
	s_or_b64 exec, exec, s[90:91]
.LBB4_427:                              ;   in Loop: Header=BB4_115 Depth=3
	s_or_b64 exec, exec, s[88:89]
.LBB4_428:                              ;   in Loop: Header=BB4_115 Depth=3
	s_or_b64 exec, exec, s[78:79]
	v_max_f32_e32 v2, v5, v5
	v_max_f32_e32 v0, v0, v0
	;; [unrolled: 1-line block ×3, first 2 shown]
                                        ; implicit-def: $vgpr19
                                        ; implicit-def: $vgpr2
.LBB4_429:                              ;   in Loop: Header=BB4_115 Depth=3
	s_andn2_saveexec_b64 s[20:21], s[76:77]
	s_cbranch_execz .LBB4_447
; %bb.430:                              ;   in Loop: Header=BB4_115 Depth=3
	v_mov_b32_e32 v5, 0
	v_mov_b32_e32 v0, 0
	s_and_saveexec_b64 s[76:77], vcc
	s_cbranch_execz .LBB4_438
; %bb.431:                              ;   in Loop: Header=BB4_115 Depth=3
	v_cmp_ne_u16_e32 vcc, s50, v2
	v_bfrev_b32_e32 v0, 1
	s_and_saveexec_b64 s[78:79], vcc
	s_cbranch_execz .LBB4_437
; %bb.432:                              ;   in Loop: Header=BB4_115 Depth=3
	v_and_b32_e32 v0, 0x7c, v2
	v_and_b32_e32 v6, 3, v2
	v_cmp_ne_u32_e32 vcc, s49, v0
                                        ; implicit-def: $vgpr0
	s_and_saveexec_b64 s[88:89], vcc
	s_xor_b64 s[88:89], exec, s[88:89]
	s_cbranch_execz .LBB4_434
; %bb.433:                              ;   in Loop: Header=BB4_115 Depth=3
	v_ffbh_u32_e32 v17, v6
	v_min_u32_e32 v17, 32, v17
	v_mov_b32_e32 v3, v59
	v_subrev_u32_e32 v20, 29, v17
	v_bfe_u32 v0, v2, 2, 5
	v_lshlrev_b64 v[2:3], v20, v[2:3]
	v_sub_u32_e32 v3, 30, v17
	v_cmp_eq_u32_e32 vcc, 0, v0
	v_cndmask_b32_e32 v0, v0, v3, vcc
	v_lshlrev_b32_e32 v3, 16, v21
	v_and_b32_e32 v2, 3, v2
	v_and_b32_e32 v3, 0x80000000, v3
	v_cndmask_b32_e32 v2, v6, v2, vcc
	v_lshl_add_u32 v0, v0, 23, v3
	v_lshl_or_b32 v0, v2, 21, v0
	v_add_u32_e32 v0, 0x38000000, v0
                                        ; implicit-def: $vgpr6
.LBB4_434:                              ;   in Loop: Header=BB4_115 Depth=3
	s_andn2_saveexec_b64 s[88:89], s[88:89]
; %bb.435:                              ;   in Loop: Header=BB4_115 Depth=3
	v_cmp_lt_i16_e32 vcc, -1, v21
	v_cndmask_b32_e32 v0, v8, v54, vcc
	v_cmp_eq_u32_e32 vcc, 0, v6
	v_cndmask_b32_e32 v0, v55, v0, vcc
; %bb.436:                              ;   in Loop: Header=BB4_115 Depth=3
	s_or_b64 exec, exec, s[88:89]
.LBB4_437:                              ;   in Loop: Header=BB4_115 Depth=3
	s_or_b64 exec, exec, s[78:79]
.LBB4_438:                              ;   in Loop: Header=BB4_115 Depth=3
	s_or_b64 exec, exec, s[76:77]
	v_cmp_ne_u16_e32 vcc, 0, v19
	s_and_saveexec_b64 s[76:77], vcc
	s_cbranch_execz .LBB4_446
; %bb.439:                              ;   in Loop: Header=BB4_115 Depth=3
	v_cmp_ne_u16_e32 vcc, s50, v19
	v_bfrev_b32_e32 v5, 1
	s_and_saveexec_b64 s[78:79], vcc
	s_cbranch_execz .LBB4_445
; %bb.440:                              ;   in Loop: Header=BB4_115 Depth=3
	v_and_b32_e32 v3, 0x7c, v19
	v_and_b32_e32 v2, 3, v19
	v_cmp_ne_u32_e32 vcc, s49, v3
                                        ; implicit-def: $vgpr5
	s_and_saveexec_b64 s[88:89], vcc
	s_xor_b64 s[88:89], exec, s[88:89]
	s_cbranch_execz .LBB4_442
; %bb.441:                              ;   in Loop: Header=BB4_115 Depth=3
	v_ffbh_u32_e32 v5, v2
	v_min_u32_e32 v17, 32, v5
	v_mov_b32_e32 v20, v59
	v_subrev_u32_e32 v5, 29, v17
	v_lshlrev_b64 v[5:6], v5, v[19:20]
	v_bfe_u32 v3, v19, 2, 5
	v_and_b32_e32 v5, 3, v5
	v_cmp_eq_u32_e32 vcc, 0, v3
	v_sub_u32_e32 v6, 30, v17
	v_cndmask_b32_e32 v2, v2, v5, vcc
	v_lshlrev_b32_e32 v5, 16, v58
	v_cndmask_b32_e32 v3, v3, v6, vcc
	v_and_b32_e32 v5, 0x80000000, v5
	v_lshl_add_u32 v3, v3, 23, v5
	v_lshl_or_b32 v2, v2, 21, v3
	v_add_u32_e32 v5, 0x38000000, v2
                                        ; implicit-def: $vgpr2
.LBB4_442:                              ;   in Loop: Header=BB4_115 Depth=3
	s_andn2_saveexec_b64 s[88:89], s[88:89]
; %bb.443:                              ;   in Loop: Header=BB4_115 Depth=3
	v_cmp_lt_i16_e32 vcc, -1, v58
	v_cndmask_b32_e32 v3, v8, v54, vcc
	v_cmp_eq_u32_e32 vcc, 0, v2
	v_cndmask_b32_e32 v5, v55, v3, vcc
; %bb.444:                              ;   in Loop: Header=BB4_115 Depth=3
	s_or_b64 exec, exec, s[88:89]
.LBB4_445:                              ;   in Loop: Header=BB4_115 Depth=3
	s_or_b64 exec, exec, s[78:79]
.LBB4_446:                              ;   in Loop: Header=BB4_115 Depth=3
	s_or_b64 exec, exec, s[76:77]
	v_max_f32_e32 v2, v5, v5
	v_max_f32_e32 v0, v0, v0
	v_min_f32_e32 v5, v0, v2
.LBB4_447:                              ;   in Loop: Header=BB4_115 Depth=3
	s_or_b64 exec, exec, s[20:21]
	v_and_b32_e32 v19, 0x7f800000, v5
	v_mov_b32_e32 v20, v59
	v_cmp_ne_u64_e32 vcc, s[58:59], v[19:20]
	v_and_b32_e32 v2, 0x7fffff, v5
	v_mov_b32_e32 v3, v59
                                        ; implicit-def: $vgpr19
	s_and_saveexec_b64 s[20:21], vcc
	s_xor_b64 s[76:77], exec, s[20:21]
	s_cbranch_execz .LBB4_461
; %bb.448:                              ;   in Loop: Header=BB4_115 Depth=3
	v_and_b32_e32 v19, 0x7fffffff, v5
	v_mov_b32_e32 v20, v59
	v_cmp_gt_u64_e32 vcc, s[60:61], v[19:20]
	v_and_b32_sdwa v0, v5, s50 dst_sel:DWORD dst_unused:UNUSED_PAD src0_sel:BYTE_3 src1_sel:DWORD
                                        ; implicit-def: $vgpr19
	s_and_saveexec_b64 s[20:21], vcc
	s_xor_b64 s[78:79], exec, s[20:21]
	s_cbranch_execz .LBB4_458
; %bb.449:                              ;   in Loop: Header=BB4_115 Depth=3
	v_mov_b32_e32 v19, 0
	v_cmp_ne_u32_e32 vcc, 0, v5
	s_and_saveexec_b64 s[88:89], vcc
	s_cbranch_execz .LBB4_457
; %bb.450:                              ;   in Loop: Header=BB4_115 Depth=3
	v_bfe_u32 v17, v5, 23, 8
	v_cmp_gt_u32_e64 s[20:21], s51, v17
	v_sub_u32_e32 v5, 0x71, v17
	v_cmp_eq_u32_e32 vcc, 0, v17
	v_cndmask_b32_e64 v5, 0, v5, s[20:21]
	v_cndmask_b32_e32 v19, v5, v25, vcc
	v_or_b32_e32 v6, 0x800000, v2
	v_add_u32_e32 v5, 21, v19
	v_cndmask_b32_e32 v2, v6, v2, vcc
	v_lshlrev_b64 v[5:6], v5, -1
	v_add_u32_e32 v20, 20, v19
	v_bfi_b32 v5, v5, 0, v2
	v_lshlrev_b64 v[27:28], v20, 1
	v_lshrrev_b64 v[2:3], v19, v[2:3]
	v_bfi_b32 v6, v6, 0, 0
	v_cmp_eq_u64_e64 s[20:21], v[5:6], v[27:28]
	v_mov_b32_e32 v6, v3
	v_mov_b32_e32 v5, v2
	s_and_saveexec_b64 s[90:91], s[20:21]
; %bb.451:                              ;   in Loop: Header=BB4_115 Depth=3
	v_bfe_u32 v3, v2, 21, 1
	v_add_co_u32_e64 v3, s[20:21], v2, v3
	v_add_co_u32_e64 v5, s[20:21], -1, v3
; %bb.452:                              ;   in Loop: Header=BB4_115 Depth=3
	s_or_b64 exec, exec, s[90:91]
	v_add_u32_e32 v3, 0xffffff81, v17
	v_cndmask_b32_e32 v3, v3, v48, vcc
	v_lshrrev_b32_e32 v6, 23, v2
	v_add3_u32 v17, v19, v3, v6
	v_add_u32_e32 v6, 14, v17
	v_and_b32_e32 v3, 0x1fffff, v5
	v_add_u32_e32 v2, v3, v2
	v_mov_b32_e32 v3, v59
	v_cmp_ne_u32_e32 vcc, 0, v6
                                        ; implicit-def: $vgpr5
	s_and_saveexec_b64 s[20:21], vcc
	s_xor_b64 s[20:21], exec, s[20:21]
; %bb.453:                              ;   in Loop: Header=BB4_115 Depth=3
	v_cmp_lt_u64_e32 vcc, s[62:63], v[2:3]
	v_add_u32_e32 v5, 15, v17
	v_cndmask_b32_e32 v5, v6, v5, vcc
	v_cndmask_b32_e64 v6, 0, 1, vcc
	v_lshrrev_b64 v[2:3], v6, v[2:3]
; %bb.454:                              ;   in Loop: Header=BB4_115 Depth=3
	s_andn2_saveexec_b64 s[20:21], s[20:21]
; %bb.455:                              ;   in Loop: Header=BB4_115 Depth=3
	v_bfe_u32 v5, v2, 23, 1
; %bb.456:                              ;   in Loop: Header=BB4_115 Depth=3
	s_or_b64 exec, exec, s[20:21]
	v_lshrrev_b64 v[2:3], 21, v[2:3]
	v_cmp_gt_i32_e32 vcc, 32, v5
	v_cndmask_b32_e32 v3, 0, v3, vcc
	v_cndmask_b32_e32 v2, 3, v2, vcc
	v_cmp_eq_u64_e64 s[20:21], 0, v[2:3]
	v_min_i32_e32 v3, 31, v5
	v_lshlrev_b32_e32 v3, 2, v3
	v_cmp_eq_u32_e32 vcc, 0, v5
	v_and_b32_e32 v3, 0xfc, v3
	v_and_or_b32 v2, v2, 3, v3
	s_and_b64 s[20:21], vcc, s[20:21]
	v_cndmask_b32_e64 v2, v2, 0, s[20:21]
	v_or_b32_e32 v19, v2, v0
.LBB4_457:                              ;   in Loop: Header=BB4_115 Depth=3
	s_or_b64 exec, exec, s[88:89]
                                        ; implicit-def: $vgpr0
.LBB4_458:                              ;   in Loop: Header=BB4_115 Depth=3
	s_andn2_saveexec_b64 s[20:21], s[78:79]
; %bb.459:                              ;   in Loop: Header=BB4_115 Depth=3
	v_or_b32_e32 v19, 0x7b, v0
; %bb.460:                              ;   in Loop: Header=BB4_115 Depth=3
	s_or_b64 exec, exec, s[20:21]
                                        ; implicit-def: $vgpr5
                                        ; implicit-def: $vgpr2_vgpr3
.LBB4_461:                              ;   in Loop: Header=BB4_115 Depth=3
	s_andn2_saveexec_b64 s[20:21], s[76:77]
	s_cbranch_execz .LBB4_467
; %bb.462:                              ;   in Loop: Header=BB4_115 Depth=3
	v_cmp_ne_u64_e32 vcc, 0, v[2:3]
                                        ; implicit-def: $vgpr19
	s_and_saveexec_b64 s[76:77], vcc
	s_xor_b64 s[76:77], exec, s[76:77]
; %bb.463:                              ;   in Loop: Header=BB4_115 Depth=3
	v_or_b32_sdwa v19, v5, s52 dst_sel:DWORD dst_unused:UNUSED_PAD src0_sel:BYTE_3 src1_sel:DWORD
                                        ; implicit-def: $vgpr5
; %bb.464:                              ;   in Loop: Header=BB4_115 Depth=3
	s_andn2_saveexec_b64 s[76:77], s[76:77]
; %bb.465:                              ;   in Loop: Header=BB4_115 Depth=3
	v_cmp_lt_i32_e32 vcc, -1, v5
	v_cndmask_b32_e32 v19, v49, v31, vcc
; %bb.466:                              ;   in Loop: Header=BB4_115 Depth=3
	s_or_b64 exec, exec, s[76:77]
.LBB4_467:                              ;   in Loop: Header=BB4_115 Depth=3
	s_or_b64 exec, exec, s[20:21]
	v_lshrrev_b32_e32 v17, 16, v21
	v_lshrrev_b32_e32 v0, 16, v58
	v_cmp_ne_u16_sdwa s[20:21], v17, v59 src0_sel:BYTE_0 src1_sel:DWORD
                                        ; implicit-def: $vgpr5
	s_and_saveexec_b64 s[76:77], s[14:15]
	s_xor_b64 s[76:77], exec, s[76:77]
	s_cbranch_execz .LBB4_485
; %bb.468:                              ;   in Loop: Header=BB4_115 Depth=3
	v_mov_b32_e32 v3, 0
	v_mov_b32_e32 v2, 0
	s_and_saveexec_b64 s[78:79], s[20:21]
	s_cbranch_execz .LBB4_476
; %bb.469:                              ;   in Loop: Header=BB4_115 Depth=3
	v_cmp_ne_u16_sdwa s[90:91], v17, s50 src0_sel:BYTE_0 src1_sel:DWORD
	v_bfrev_b32_e32 v2, 1
	s_and_saveexec_b64 s[88:89], s[90:91]
	s_cbranch_execz .LBB4_475
; %bb.470:                              ;   in Loop: Header=BB4_115 Depth=3
	v_and_b32_e32 v2, 0x7c0000, v21
	v_bfe_u32 v5, v21, 16, 2
	v_cmp_ne_u32_e32 vcc, s53, v2
                                        ; implicit-def: $vgpr2
	s_and_saveexec_b64 s[90:91], vcc
	s_xor_b64 s[90:91], exec, s[90:91]
	s_cbranch_execz .LBB4_472
; %bb.471:                              ;   in Loop: Header=BB4_115 Depth=3
	v_ffbh_u32_e32 v6, v5
	v_min_u32_e32 v6, 32, v6
	v_bfe_u32 v2, v21, 18, 5
	v_subrev_u32_e32 v20, 29, v6
	v_lshlrev_b64 v[27:28], v20, v[17:18]
	v_sub_u32_e32 v6, 30, v6
	v_cmp_eq_u32_e32 vcc, 0, v2
	v_cndmask_b32_e32 v2, v2, v6, vcc
	v_lshlrev_b32_e32 v6, 24, v17
	v_and_b32_e32 v20, 3, v27
	v_and_b32_e32 v6, 0x80000000, v6
	v_cndmask_b32_e32 v5, v5, v20, vcc
	v_lshl_add_u32 v2, v2, 23, v6
	v_lshl_or_b32 v2, v5, 21, v2
	v_add_u32_e32 v2, 0x38000000, v2
                                        ; implicit-def: $vgpr5
                                        ; implicit-def: $vgpr17
.LBB4_472:                              ;   in Loop: Header=BB4_115 Depth=3
	s_andn2_saveexec_b64 s[90:91], s[90:91]
; %bb.473:                              ;   in Loop: Header=BB4_115 Depth=3
	v_cmp_gt_i16_sdwa vcc, sext(v17), v43 src0_sel:BYTE_0 src1_sel:DWORD
	v_cndmask_b32_e32 v2, v8, v54, vcc
	v_cmp_eq_u32_e32 vcc, 0, v5
	v_cndmask_b32_e32 v2, v55, v2, vcc
; %bb.474:                              ;   in Loop: Header=BB4_115 Depth=3
	s_or_b64 exec, exec, s[90:91]
.LBB4_475:                              ;   in Loop: Header=BB4_115 Depth=3
	s_or_b64 exec, exec, s[88:89]
.LBB4_476:                              ;   in Loop: Header=BB4_115 Depth=3
	s_or_b64 exec, exec, s[78:79]
	v_and_b32_sdwa v5, v58, s39 dst_sel:DWORD dst_unused:UNUSED_PAD src0_sel:WORD_1 src1_sel:DWORD
	v_cmp_ne_u16_e32 vcc, 0, v5
	s_and_saveexec_b64 s[78:79], vcc
	s_cbranch_execz .LBB4_484
; %bb.477:                              ;   in Loop: Header=BB4_115 Depth=3
	v_cmp_ne_u16_e32 vcc, s50, v5
	v_bfrev_b32_e32 v3, 1
	s_and_saveexec_b64 s[88:89], vcc
	s_cbranch_execz .LBB4_483
; %bb.478:                              ;   in Loop: Header=BB4_115 Depth=3
	v_and_b32_e32 v3, 0x7c0000, v58
	v_bfe_u32 v5, v58, 16, 2
	v_cmp_ne_u32_e32 vcc, s53, v3
                                        ; implicit-def: $vgpr3
	s_and_saveexec_b64 s[90:91], vcc
	s_xor_b64 s[90:91], exec, s[90:91]
	s_cbranch_execz .LBB4_480
; %bb.479:                              ;   in Loop: Header=BB4_115 Depth=3
	v_ffbh_u32_e32 v6, v5
	v_min_u32_e32 v6, 32, v6
	v_subrev_u32_e32 v17, 29, v6
	v_bfe_u32 v3, v58, 18, 5
	v_lshlrev_b64 v[27:28], v17, v[0:1]
	v_sub_u32_e32 v6, 30, v6
	v_cmp_eq_u32_e32 vcc, 0, v3
	v_lshlrev_b32_e32 v0, 24, v0
	v_and_b32_e32 v17, 3, v27
	v_cndmask_b32_e32 v3, v3, v6, vcc
	v_and_b32_e32 v0, 0x80000000, v0
	v_cndmask_b32_e32 v5, v5, v17, vcc
	v_lshl_add_u32 v0, v3, 23, v0
	v_lshl_or_b32 v0, v5, 21, v0
	v_add_u32_e32 v3, 0x38000000, v0
                                        ; implicit-def: $vgpr5
                                        ; implicit-def: $vgpr0
.LBB4_480:                              ;   in Loop: Header=BB4_115 Depth=3
	s_andn2_saveexec_b64 s[90:91], s[90:91]
; %bb.481:                              ;   in Loop: Header=BB4_115 Depth=3
	v_cmp_gt_i16_sdwa vcc, sext(v0), v43 src0_sel:BYTE_0 src1_sel:DWORD
	v_cndmask_b32_e32 v0, v8, v54, vcc
	v_cmp_eq_u32_e32 vcc, 0, v5
	v_cndmask_b32_e32 v3, v55, v0, vcc
; %bb.482:                              ;   in Loop: Header=BB4_115 Depth=3
	s_or_b64 exec, exec, s[90:91]
.LBB4_483:                              ;   in Loop: Header=BB4_115 Depth=3
	s_or_b64 exec, exec, s[88:89]
.LBB4_484:                              ;   in Loop: Header=BB4_115 Depth=3
	s_or_b64 exec, exec, s[78:79]
	v_max_f32_e32 v0, v3, v3
	v_max_f32_e32 v2, v2, v2
	;; [unrolled: 1-line block ×3, first 2 shown]
                                        ; implicit-def: $vgpr17
                                        ; implicit-def: $vgpr0
.LBB4_485:                              ;   in Loop: Header=BB4_115 Depth=3
	s_andn2_saveexec_b64 s[76:77], s[76:77]
	s_cbranch_execz .LBB4_503
; %bb.486:                              ;   in Loop: Header=BB4_115 Depth=3
	v_mov_b32_e32 v3, 0
	v_mov_b32_e32 v2, 0
	s_and_saveexec_b64 s[78:79], s[20:21]
	s_cbranch_execz .LBB4_494
; %bb.487:                              ;   in Loop: Header=BB4_115 Depth=3
	v_cmp_ne_u16_sdwa s[88:89], v17, s50 src0_sel:BYTE_0 src1_sel:DWORD
	v_bfrev_b32_e32 v2, 1
	s_and_saveexec_b64 s[20:21], s[88:89]
	s_cbranch_execz .LBB4_493
; %bb.488:                              ;   in Loop: Header=BB4_115 Depth=3
	v_and_b32_e32 v2, 0x7c0000, v21
	v_bfe_u32 v5, v21, 16, 2
	v_cmp_ne_u32_e32 vcc, s53, v2
                                        ; implicit-def: $vgpr2
	s_and_saveexec_b64 s[88:89], vcc
	s_xor_b64 s[88:89], exec, s[88:89]
	s_cbranch_execz .LBB4_490
; %bb.489:                              ;   in Loop: Header=BB4_115 Depth=3
	v_ffbh_u32_e32 v6, v5
	v_min_u32_e32 v6, 32, v6
	v_bfe_u32 v2, v21, 18, 5
	v_subrev_u32_e32 v20, 29, v6
	v_lshlrev_b64 v[27:28], v20, v[17:18]
	v_sub_u32_e32 v6, 30, v6
	v_cmp_eq_u32_e32 vcc, 0, v2
	v_cndmask_b32_e32 v2, v2, v6, vcc
	v_lshlrev_b32_e32 v6, 24, v17
	v_and_b32_e32 v20, 3, v27
	v_and_b32_e32 v6, 0x80000000, v6
	v_cndmask_b32_e32 v5, v5, v20, vcc
	v_lshl_add_u32 v2, v2, 23, v6
	v_lshl_or_b32 v2, v5, 21, v2
	v_add_u32_e32 v2, 0x38000000, v2
                                        ; implicit-def: $vgpr5
                                        ; implicit-def: $vgpr17
.LBB4_490:                              ;   in Loop: Header=BB4_115 Depth=3
	s_andn2_saveexec_b64 s[88:89], s[88:89]
; %bb.491:                              ;   in Loop: Header=BB4_115 Depth=3
	v_cmp_gt_i16_sdwa vcc, sext(v17), v43 src0_sel:BYTE_0 src1_sel:DWORD
	v_cndmask_b32_e32 v2, v8, v54, vcc
	v_cmp_eq_u32_e32 vcc, 0, v5
	v_cndmask_b32_e32 v2, v55, v2, vcc
; %bb.492:                              ;   in Loop: Header=BB4_115 Depth=3
	s_or_b64 exec, exec, s[88:89]
.LBB4_493:                              ;   in Loop: Header=BB4_115 Depth=3
	s_or_b64 exec, exec, s[20:21]
.LBB4_494:                              ;   in Loop: Header=BB4_115 Depth=3
	s_or_b64 exec, exec, s[78:79]
	v_and_b32_sdwa v5, v58, s39 dst_sel:DWORD dst_unused:UNUSED_PAD src0_sel:WORD_1 src1_sel:DWORD
	v_cmp_ne_u16_e32 vcc, 0, v5
	s_and_saveexec_b64 s[20:21], vcc
	s_cbranch_execz .LBB4_502
; %bb.495:                              ;   in Loop: Header=BB4_115 Depth=3
	v_cmp_ne_u16_e32 vcc, s50, v5
	v_bfrev_b32_e32 v3, 1
	s_and_saveexec_b64 s[78:79], vcc
	s_cbranch_execz .LBB4_501
; %bb.496:                              ;   in Loop: Header=BB4_115 Depth=3
	v_and_b32_e32 v3, 0x7c0000, v58
	v_bfe_u32 v5, v58, 16, 2
	v_cmp_ne_u32_e32 vcc, s53, v3
                                        ; implicit-def: $vgpr3
	s_and_saveexec_b64 s[88:89], vcc
	s_xor_b64 s[88:89], exec, s[88:89]
	s_cbranch_execz .LBB4_498
; %bb.497:                              ;   in Loop: Header=BB4_115 Depth=3
	v_ffbh_u32_e32 v6, v5
	v_min_u32_e32 v6, 32, v6
	v_subrev_u32_e32 v17, 29, v6
	v_bfe_u32 v3, v58, 18, 5
	v_lshlrev_b64 v[27:28], v17, v[0:1]
	v_sub_u32_e32 v6, 30, v6
	v_cmp_eq_u32_e32 vcc, 0, v3
	v_lshlrev_b32_e32 v0, 24, v0
	v_and_b32_e32 v17, 3, v27
	v_cndmask_b32_e32 v3, v3, v6, vcc
	v_and_b32_e32 v0, 0x80000000, v0
	v_cndmask_b32_e32 v5, v5, v17, vcc
	v_lshl_add_u32 v0, v3, 23, v0
	v_lshl_or_b32 v0, v5, 21, v0
	v_add_u32_e32 v3, 0x38000000, v0
                                        ; implicit-def: $vgpr5
                                        ; implicit-def: $vgpr0
.LBB4_498:                              ;   in Loop: Header=BB4_115 Depth=3
	s_andn2_saveexec_b64 s[88:89], s[88:89]
; %bb.499:                              ;   in Loop: Header=BB4_115 Depth=3
	v_cmp_gt_i16_sdwa vcc, sext(v0), v43 src0_sel:BYTE_0 src1_sel:DWORD
	v_cndmask_b32_e32 v0, v8, v54, vcc
	v_cmp_eq_u32_e32 vcc, 0, v5
	v_cndmask_b32_e32 v3, v55, v0, vcc
; %bb.500:                              ;   in Loop: Header=BB4_115 Depth=3
	s_or_b64 exec, exec, s[88:89]
.LBB4_501:                              ;   in Loop: Header=BB4_115 Depth=3
	s_or_b64 exec, exec, s[78:79]
.LBB4_502:                              ;   in Loop: Header=BB4_115 Depth=3
	s_or_b64 exec, exec, s[20:21]
	v_max_f32_e32 v0, v3, v3
	v_max_f32_e32 v2, v2, v2
	v_min_f32_e32 v5, v2, v0
.LBB4_503:                              ;   in Loop: Header=BB4_115 Depth=3
	s_or_b64 exec, exec, s[76:77]
	v_and_b32_e32 v27, 0x7f800000, v5
	v_mov_b32_e32 v28, v59
	v_cmp_ne_u64_e32 vcc, s[58:59], v[27:28]
	v_and_b32_e32 v2, 0x7fffff, v5
	v_mov_b32_e32 v3, v59
                                        ; implicit-def: $vgpr24
	s_and_saveexec_b64 s[20:21], vcc
	s_xor_b64 s[76:77], exec, s[20:21]
	s_cbranch_execz .LBB4_517
; %bb.504:                              ;   in Loop: Header=BB4_115 Depth=3
	v_and_b32_e32 v27, 0x7fffffff, v5
	v_mov_b32_e32 v28, v59
	v_cmp_gt_u64_e32 vcc, s[60:61], v[27:28]
	v_and_b32_sdwa v0, v5, s50 dst_sel:DWORD dst_unused:UNUSED_PAD src0_sel:BYTE_3 src1_sel:DWORD
                                        ; implicit-def: $vgpr24
	s_and_saveexec_b64 s[20:21], vcc
	s_xor_b64 s[78:79], exec, s[20:21]
	s_cbranch_execz .LBB4_514
; %bb.505:                              ;   in Loop: Header=BB4_115 Depth=3
	v_mov_b32_e32 v24, 0
	v_cmp_ne_u32_e32 vcc, 0, v5
	s_and_saveexec_b64 s[88:89], vcc
	s_cbranch_execz .LBB4_513
; %bb.506:                              ;   in Loop: Header=BB4_115 Depth=3
	v_bfe_u32 v17, v5, 23, 8
	v_cmp_gt_u32_e64 s[20:21], s51, v17
	v_sub_u32_e32 v5, 0x71, v17
	v_cmp_eq_u32_e32 vcc, 0, v17
	v_cndmask_b32_e64 v5, 0, v5, s[20:21]
	v_cndmask_b32_e32 v20, v5, v25, vcc
	v_or_b32_e32 v6, 0x800000, v2
	v_add_u32_e32 v5, 21, v20
	v_cndmask_b32_e32 v2, v6, v2, vcc
	v_lshlrev_b64 v[5:6], v5, -1
	v_add_u32_e32 v24, 20, v20
	v_bfi_b32 v5, v5, 0, v2
	v_lshlrev_b64 v[27:28], v24, 1
	v_lshrrev_b64 v[2:3], v20, v[2:3]
	v_bfi_b32 v6, v6, 0, 0
	v_cmp_eq_u64_e64 s[20:21], v[5:6], v[27:28]
	v_mov_b32_e32 v6, v3
	v_mov_b32_e32 v5, v2
	s_and_saveexec_b64 s[90:91], s[20:21]
; %bb.507:                              ;   in Loop: Header=BB4_115 Depth=3
	v_bfe_u32 v3, v2, 21, 1
	v_add_co_u32_e64 v3, s[20:21], v2, v3
	v_add_co_u32_e64 v5, s[20:21], -1, v3
; %bb.508:                              ;   in Loop: Header=BB4_115 Depth=3
	s_or_b64 exec, exec, s[90:91]
	v_add_u32_e32 v3, 0xffffff81, v17
	v_cndmask_b32_e32 v3, v3, v48, vcc
	v_lshrrev_b32_e32 v6, 23, v2
	v_add3_u32 v17, v20, v3, v6
	v_add_u32_e32 v6, 14, v17
	v_and_b32_e32 v3, 0x1fffff, v5
	v_add_u32_e32 v2, v3, v2
	v_mov_b32_e32 v3, v59
	v_cmp_ne_u32_e32 vcc, 0, v6
                                        ; implicit-def: $vgpr5
	s_and_saveexec_b64 s[20:21], vcc
	s_xor_b64 s[20:21], exec, s[20:21]
; %bb.509:                              ;   in Loop: Header=BB4_115 Depth=3
	v_cmp_lt_u64_e32 vcc, s[62:63], v[2:3]
	v_add_u32_e32 v5, 15, v17
	v_cndmask_b32_e32 v5, v6, v5, vcc
	v_cndmask_b32_e64 v6, 0, 1, vcc
	v_lshrrev_b64 v[2:3], v6, v[2:3]
; %bb.510:                              ;   in Loop: Header=BB4_115 Depth=3
	s_andn2_saveexec_b64 s[20:21], s[20:21]
; %bb.511:                              ;   in Loop: Header=BB4_115 Depth=3
	v_bfe_u32 v5, v2, 23, 1
; %bb.512:                              ;   in Loop: Header=BB4_115 Depth=3
	s_or_b64 exec, exec, s[20:21]
	v_lshrrev_b64 v[2:3], 21, v[2:3]
	v_cmp_gt_i32_e32 vcc, 32, v5
	v_cndmask_b32_e32 v3, 0, v3, vcc
	v_cndmask_b32_e32 v2, 3, v2, vcc
	v_cmp_eq_u64_e64 s[20:21], 0, v[2:3]
	v_min_i32_e32 v3, 31, v5
	v_lshlrev_b32_e32 v3, 2, v3
	v_cmp_eq_u32_e32 vcc, 0, v5
	v_and_b32_e32 v3, 0xfc, v3
	v_and_or_b32 v2, v2, 3, v3
	s_and_b64 s[20:21], vcc, s[20:21]
	v_cndmask_b32_e64 v2, v2, 0, s[20:21]
	v_or_b32_e32 v24, v2, v0
.LBB4_513:                              ;   in Loop: Header=BB4_115 Depth=3
	s_or_b64 exec, exec, s[88:89]
                                        ; implicit-def: $vgpr0
.LBB4_514:                              ;   in Loop: Header=BB4_115 Depth=3
	s_andn2_saveexec_b64 s[20:21], s[78:79]
; %bb.515:                              ;   in Loop: Header=BB4_115 Depth=3
	v_or_b32_e32 v24, 0x7b, v0
; %bb.516:                              ;   in Loop: Header=BB4_115 Depth=3
	s_or_b64 exec, exec, s[20:21]
                                        ; implicit-def: $vgpr5
                                        ; implicit-def: $vgpr2_vgpr3
.LBB4_517:                              ;   in Loop: Header=BB4_115 Depth=3
	s_andn2_saveexec_b64 s[20:21], s[76:77]
	s_cbranch_execz .LBB4_523
; %bb.518:                              ;   in Loop: Header=BB4_115 Depth=3
	v_cmp_ne_u64_e32 vcc, 0, v[2:3]
                                        ; implicit-def: $vgpr24
	s_and_saveexec_b64 s[76:77], vcc
	s_xor_b64 s[76:77], exec, s[76:77]
; %bb.519:                              ;   in Loop: Header=BB4_115 Depth=3
	v_or_b32_sdwa v24, v5, s52 dst_sel:DWORD dst_unused:UNUSED_PAD src0_sel:BYTE_3 src1_sel:DWORD
                                        ; implicit-def: $vgpr5
; %bb.520:                              ;   in Loop: Header=BB4_115 Depth=3
	s_andn2_saveexec_b64 s[76:77], s[76:77]
; %bb.521:                              ;   in Loop: Header=BB4_115 Depth=3
	v_cmp_lt_i32_e32 vcc, -1, v5
	v_cndmask_b32_e32 v24, v49, v31, vcc
; %bb.522:                              ;   in Loop: Header=BB4_115 Depth=3
	s_or_b64 exec, exec, s[76:77]
.LBB4_523:                              ;   in Loop: Header=BB4_115 Depth=3
	s_or_b64 exec, exec, s[20:21]
	v_mov_b32_e32 v20, v59
	v_cmp_lt_u64_e32 vcc, s[56:57], v[20:21]
	v_lshrrev_b32_e32 v17, 24, v21
	v_lshrrev_b32_e32 v0, 24, v58
	v_mov_b32_e32 v27, v59
	v_mov_b32_e32 v28, v58
                                        ; implicit-def: $vgpr2
	s_and_saveexec_b64 s[20:21], s[14:15]
	s_xor_b64 s[76:77], exec, s[20:21]
	s_cbranch_execz .LBB4_541
; %bb.524:                              ;   in Loop: Header=BB4_115 Depth=3
	v_mov_b32_e32 v3, 0
	v_mov_b32_e32 v2, 0
	s_and_saveexec_b64 s[78:79], vcc
	s_cbranch_execz .LBB4_532
; %bb.525:                              ;   in Loop: Header=BB4_115 Depth=3
	v_cmp_ne_u32_e64 s[20:21], s50, v17
	v_bfrev_b32_e32 v2, 1
	s_and_saveexec_b64 s[88:89], s[20:21]
	s_cbranch_execz .LBB4_531
; %bb.526:                              ;   in Loop: Header=BB4_115 Depth=3
	v_and_b32_e32 v2, 0x7c000000, v21
	v_bfe_u32 v5, v21, 24, 2
	v_cmp_ne_u32_e64 s[20:21], s54, v2
                                        ; implicit-def: $vgpr2
	s_and_saveexec_b64 s[90:91], s[20:21]
	s_xor_b64 s[90:91], exec, s[90:91]
	s_cbranch_execz .LBB4_528
; %bb.527:                              ;   in Loop: Header=BB4_115 Depth=3
	v_ffbh_u32_e32 v6, v5
	v_min_u32_e32 v6, 32, v6
	v_subrev_u32_e32 v20, 29, v6
	v_bfe_u32 v2, v21, 26, 5
	v_lshlrev_b64 v[38:39], v20, v[17:18]
	v_sub_u32_e32 v6, 30, v6
	v_cmp_eq_u32_e64 s[20:21], 0, v2
	v_and_b32_e32 v17, 3, v38
	v_cndmask_b32_e64 v2, v2, v6, s[20:21]
	v_and_b32_e32 v6, 0x80000000, v21
	v_cndmask_b32_e64 v5, v5, v17, s[20:21]
	v_lshl_add_u32 v2, v2, 23, v6
	v_lshl_or_b32 v2, v5, 21, v2
	v_add_u32_e32 v2, 0x38000000, v2
                                        ; implicit-def: $vgpr5
                                        ; implicit-def: $vgpr20_vgpr21
.LBB4_528:                              ;   in Loop: Header=BB4_115 Depth=3
	s_andn2_saveexec_b64 s[90:91], s[90:91]
; %bb.529:                              ;   in Loop: Header=BB4_115 Depth=3
	v_cmp_lt_i64_e64 s[20:21], -1, v[20:21]
	v_cndmask_b32_e64 v2, v8, v54, s[20:21]
	v_cmp_eq_u32_e64 s[20:21], 0, v5
	v_cndmask_b32_e64 v2, v55, v2, s[20:21]
; %bb.530:                              ;   in Loop: Header=BB4_115 Depth=3
	s_or_b64 exec, exec, s[90:91]
.LBB4_531:                              ;   in Loop: Header=BB4_115 Depth=3
	s_or_b64 exec, exec, s[88:89]
.LBB4_532:                              ;   in Loop: Header=BB4_115 Depth=3
	s_or_b64 exec, exec, s[78:79]
	v_cmp_lt_u32_e64 s[20:21], s57, v58
	s_and_saveexec_b64 s[78:79], s[20:21]
	s_cbranch_execz .LBB4_540
; %bb.533:                              ;   in Loop: Header=BB4_115 Depth=3
	v_cmp_ne_u32_e64 s[20:21], s50, v0
	v_bfrev_b32_e32 v3, 1
	s_and_saveexec_b64 s[88:89], s[20:21]
	s_cbranch_execz .LBB4_539
; %bb.534:                              ;   in Loop: Header=BB4_115 Depth=3
	v_and_b32_e32 v3, 0x7c000000, v58
	v_bfe_u32 v5, v58, 24, 2
	v_cmp_ne_u32_e64 s[20:21], s54, v3
                                        ; implicit-def: $vgpr3
	s_and_saveexec_b64 s[90:91], s[20:21]
	s_xor_b64 s[90:91], exec, s[90:91]
	s_cbranch_execz .LBB4_536
; %bb.535:                              ;   in Loop: Header=BB4_115 Depth=3
	v_ffbh_u32_e32 v6, v5
	v_min_u32_e32 v6, 32, v6
	v_subrev_u32_e32 v17, 29, v6
	v_lshlrev_b64 v[20:21], v17, v[0:1]
	v_bfe_u32 v3, v58, 26, 5
	v_sub_u32_e32 v0, 30, v6
	v_and_b32_e32 v6, 3, v20
	v_cmp_eq_u32_e64 s[20:21], 0, v3
	v_cndmask_b32_e64 v0, v3, v0, s[20:21]
	v_cndmask_b32_e64 v3, v5, v6, s[20:21]
	v_and_b32_e32 v5, 0x80000000, v58
	v_lshl_add_u32 v0, v0, 23, v5
	v_lshl_or_b32 v0, v3, 21, v0
	v_add_u32_e32 v3, 0x38000000, v0
                                        ; implicit-def: $vgpr5
                                        ; implicit-def: $vgpr27_vgpr28
.LBB4_536:                              ;   in Loop: Header=BB4_115 Depth=3
	s_andn2_saveexec_b64 s[90:91], s[90:91]
; %bb.537:                              ;   in Loop: Header=BB4_115 Depth=3
	v_cmp_lt_i64_e64 s[20:21], -1, v[27:28]
	v_cndmask_b32_e64 v0, v8, v54, s[20:21]
	v_cmp_eq_u32_e64 s[20:21], 0, v5
	v_cndmask_b32_e64 v3, v55, v0, s[20:21]
; %bb.538:                              ;   in Loop: Header=BB4_115 Depth=3
	s_or_b64 exec, exec, s[90:91]
.LBB4_539:                              ;   in Loop: Header=BB4_115 Depth=3
	s_or_b64 exec, exec, s[88:89]
.LBB4_540:                              ;   in Loop: Header=BB4_115 Depth=3
	s_or_b64 exec, exec, s[78:79]
	v_max_f32_e32 v0, v3, v3
	v_max_f32_e32 v2, v2, v2
	;; [unrolled: 1-line block ×3, first 2 shown]
                                        ; implicit-def: $vgpr0
                                        ; implicit-def: $vgpr17
                                        ; implicit-def: $vgpr27_vgpr28
                                        ; implicit-def: $vgpr20_vgpr21
.LBB4_541:                              ;   in Loop: Header=BB4_115 Depth=3
	s_andn2_saveexec_b64 s[20:21], s[76:77]
	s_cbranch_execz .LBB4_559
; %bb.542:                              ;   in Loop: Header=BB4_115 Depth=3
	v_mov_b32_e32 v3, 0
	v_mov_b32_e32 v2, 0
	s_and_saveexec_b64 s[76:77], vcc
	s_cbranch_execz .LBB4_550
; %bb.543:                              ;   in Loop: Header=BB4_115 Depth=3
	v_cmp_ne_u32_e32 vcc, s50, v17
	v_bfrev_b32_e32 v2, 1
	s_and_saveexec_b64 s[78:79], vcc
	s_cbranch_execz .LBB4_549
; %bb.544:                              ;   in Loop: Header=BB4_115 Depth=3
	v_and_b32_e32 v2, 0x7c000000, v21
	v_bfe_u32 v5, v21, 24, 2
	v_cmp_ne_u32_e32 vcc, s54, v2
                                        ; implicit-def: $vgpr2
	s_and_saveexec_b64 s[88:89], vcc
	s_xor_b64 s[88:89], exec, s[88:89]
	s_cbranch_execz .LBB4_546
; %bb.545:                              ;   in Loop: Header=BB4_115 Depth=3
	v_ffbh_u32_e32 v6, v5
	v_min_u32_e32 v6, 32, v6
	v_subrev_u32_e32 v20, 29, v6
	v_bfe_u32 v2, v21, 26, 5
	v_lshlrev_b64 v[38:39], v20, v[17:18]
	v_sub_u32_e32 v6, 30, v6
	v_cmp_eq_u32_e32 vcc, 0, v2
	v_and_b32_e32 v17, 3, v38
	v_cndmask_b32_e32 v2, v2, v6, vcc
	v_and_b32_e32 v6, 0x80000000, v21
	v_cndmask_b32_e32 v5, v5, v17, vcc
	v_lshl_add_u32 v2, v2, 23, v6
	v_lshl_or_b32 v2, v5, 21, v2
	v_add_u32_e32 v2, 0x38000000, v2
                                        ; implicit-def: $vgpr5
                                        ; implicit-def: $vgpr20_vgpr21
.LBB4_546:                              ;   in Loop: Header=BB4_115 Depth=3
	s_andn2_saveexec_b64 s[88:89], s[88:89]
; %bb.547:                              ;   in Loop: Header=BB4_115 Depth=3
	v_cmp_lt_i64_e32 vcc, -1, v[20:21]
	v_cndmask_b32_e32 v2, v8, v54, vcc
	v_cmp_eq_u32_e32 vcc, 0, v5
	v_cndmask_b32_e32 v2, v55, v2, vcc
; %bb.548:                              ;   in Loop: Header=BB4_115 Depth=3
	s_or_b64 exec, exec, s[88:89]
.LBB4_549:                              ;   in Loop: Header=BB4_115 Depth=3
	s_or_b64 exec, exec, s[78:79]
.LBB4_550:                              ;   in Loop: Header=BB4_115 Depth=3
	s_or_b64 exec, exec, s[76:77]
	v_cmp_lt_u32_e32 vcc, s57, v58
	s_and_saveexec_b64 s[76:77], vcc
	s_cbranch_execz .LBB4_558
; %bb.551:                              ;   in Loop: Header=BB4_115 Depth=3
	v_cmp_ne_u32_e32 vcc, s50, v0
	v_bfrev_b32_e32 v3, 1
	s_and_saveexec_b64 s[78:79], vcc
	s_cbranch_execz .LBB4_557
; %bb.552:                              ;   in Loop: Header=BB4_115 Depth=3
	v_and_b32_e32 v3, 0x7c000000, v58
	v_bfe_u32 v5, v58, 24, 2
	v_cmp_ne_u32_e32 vcc, s54, v3
                                        ; implicit-def: $vgpr3
	s_and_saveexec_b64 s[88:89], vcc
	s_xor_b64 s[88:89], exec, s[88:89]
	s_cbranch_execz .LBB4_554
; %bb.553:                              ;   in Loop: Header=BB4_115 Depth=3
	v_ffbh_u32_e32 v6, v5
	v_min_u32_e32 v6, 32, v6
	v_subrev_u32_e32 v17, 29, v6
	v_lshlrev_b64 v[20:21], v17, v[0:1]
	v_bfe_u32 v3, v58, 26, 5
	v_sub_u32_e32 v0, 30, v6
	v_and_b32_e32 v6, 3, v20
	v_cmp_eq_u32_e32 vcc, 0, v3
	v_cndmask_b32_e32 v0, v3, v0, vcc
	v_cndmask_b32_e32 v3, v5, v6, vcc
	v_and_b32_e32 v5, 0x80000000, v58
	v_lshl_add_u32 v0, v0, 23, v5
	v_lshl_or_b32 v0, v3, 21, v0
	v_add_u32_e32 v3, 0x38000000, v0
                                        ; implicit-def: $vgpr5
                                        ; implicit-def: $vgpr27_vgpr28
.LBB4_554:                              ;   in Loop: Header=BB4_115 Depth=3
	s_andn2_saveexec_b64 s[88:89], s[88:89]
; %bb.555:                              ;   in Loop: Header=BB4_115 Depth=3
	v_cmp_lt_i64_e32 vcc, -1, v[27:28]
	v_cndmask_b32_e32 v0, v8, v54, vcc
	v_cmp_eq_u32_e32 vcc, 0, v5
	v_cndmask_b32_e32 v3, v55, v0, vcc
; %bb.556:                              ;   in Loop: Header=BB4_115 Depth=3
	s_or_b64 exec, exec, s[88:89]
.LBB4_557:                              ;   in Loop: Header=BB4_115 Depth=3
	s_or_b64 exec, exec, s[78:79]
.LBB4_558:                              ;   in Loop: Header=BB4_115 Depth=3
	s_or_b64 exec, exec, s[76:77]
	v_max_f32_e32 v0, v3, v3
	v_max_f32_e32 v2, v2, v2
	v_min_f32_e32 v2, v2, v0
.LBB4_559:                              ;   in Loop: Header=BB4_115 Depth=3
	s_or_b64 exec, exec, s[20:21]
	v_and_b32_e32 v5, 0x7f800000, v2
	v_mov_b32_e32 v6, v59
	v_cmp_ne_u64_e32 vcc, s[58:59], v[5:6]
	v_and_b32_e32 v58, 0x7fffff, v2
                                        ; implicit-def: $vgpr3
	s_and_saveexec_b64 s[20:21], vcc
	s_xor_b64 s[76:77], exec, s[20:21]
	s_cbranch_execz .LBB4_573
; %bb.560:                              ;   in Loop: Header=BB4_115 Depth=3
	v_and_b32_e32 v5, 0x7fffffff, v2
	v_mov_b32_e32 v6, v59
	v_cmp_gt_u64_e32 vcc, s[60:61], v[5:6]
	v_and_b32_sdwa v0, v2, s50 dst_sel:DWORD dst_unused:UNUSED_PAD src0_sel:BYTE_3 src1_sel:DWORD
                                        ; implicit-def: $vgpr3
	s_and_saveexec_b64 s[20:21], vcc
	s_xor_b64 s[78:79], exec, s[20:21]
	s_cbranch_execz .LBB4_570
; %bb.561:                              ;   in Loop: Header=BB4_115 Depth=3
	v_mov_b32_e32 v3, 0
	v_cmp_ne_u32_e32 vcc, 0, v2
	s_and_saveexec_b64 s[88:89], vcc
	s_cbranch_execz .LBB4_569
; %bb.562:                              ;   in Loop: Header=BB4_115 Depth=3
	v_bfe_u32 v17, v2, 23, 8
	v_cmp_gt_u32_e64 s[20:21], s51, v17
	v_sub_u32_e32 v2, 0x71, v17
	v_cmp_eq_u32_e32 vcc, 0, v17
	v_cndmask_b32_e64 v2, 0, v2, s[20:21]
	v_cndmask_b32_e32 v20, v2, v25, vcc
	v_or_b32_e32 v3, 0x800000, v58
	v_add_u32_e32 v2, 21, v20
	v_cndmask_b32_e32 v58, v3, v58, vcc
	v_lshlrev_b64 v[2:3], v2, -1
	v_add_u32_e32 v5, 20, v20
	v_lshlrev_b64 v[5:6], v5, 1
	v_bfi_b32 v3, v3, 0, 0
	v_bfi_b32 v2, v2, 0, v58
	v_cmp_eq_u64_e64 s[20:21], v[2:3], v[5:6]
	v_lshrrev_b64 v[2:3], v20, v[58:59]
	v_mov_b32_e32 v6, v3
	v_mov_b32_e32 v5, v2
	s_and_saveexec_b64 s[90:91], s[20:21]
; %bb.563:                              ;   in Loop: Header=BB4_115 Depth=3
	v_bfe_u32 v3, v2, 21, 1
	v_add_co_u32_e64 v3, s[20:21], v2, v3
	v_add_co_u32_e64 v5, s[20:21], -1, v3
; %bb.564:                              ;   in Loop: Header=BB4_115 Depth=3
	s_or_b64 exec, exec, s[90:91]
	v_add_u32_e32 v3, 0xffffff81, v17
	v_cndmask_b32_e32 v3, v3, v48, vcc
	v_lshrrev_b32_e32 v6, 23, v2
	v_add3_u32 v17, v20, v3, v6
	v_add_u32_e32 v6, 14, v17
	v_and_b32_e32 v3, 0x1fffff, v5
	v_add_u32_e32 v58, v3, v2
	v_cmp_ne_u32_e32 vcc, 0, v6
                                        ; implicit-def: $vgpr2_vgpr3
                                        ; implicit-def: $vgpr5
	s_and_saveexec_b64 s[20:21], vcc
	s_xor_b64 s[20:21], exec, s[20:21]
; %bb.565:                              ;   in Loop: Header=BB4_115 Depth=3
	v_cmp_lt_u64_e32 vcc, s[62:63], v[58:59]
	v_add_u32_e32 v2, 15, v17
	v_cndmask_b32_e32 v5, v6, v2, vcc
	v_cndmask_b32_e64 v2, 0, 1, vcc
	v_lshrrev_b64 v[2:3], v2, v[58:59]
; %bb.566:                              ;   in Loop: Header=BB4_115 Depth=3
	s_andn2_saveexec_b64 s[20:21], s[20:21]
; %bb.567:                              ;   in Loop: Header=BB4_115 Depth=3
	v_mov_b32_e32 v2, v58
	v_bfe_u32 v5, v58, 23, 1
	v_mov_b32_e32 v3, v59
; %bb.568:                              ;   in Loop: Header=BB4_115 Depth=3
	s_or_b64 exec, exec, s[20:21]
	v_lshrrev_b64 v[2:3], 21, v[2:3]
	v_cmp_gt_i32_e32 vcc, 32, v5
	v_cndmask_b32_e32 v3, 0, v3, vcc
	v_cndmask_b32_e32 v2, 3, v2, vcc
	v_cmp_eq_u64_e64 s[20:21], 0, v[2:3]
	v_min_i32_e32 v3, 31, v5
	v_lshlrev_b32_e32 v3, 2, v3
	v_cmp_eq_u32_e32 vcc, 0, v5
	v_and_b32_e32 v3, 0xfc, v3
	v_and_or_b32 v2, v2, 3, v3
	s_and_b64 s[20:21], vcc, s[20:21]
	v_cndmask_b32_e64 v2, v2, 0, s[20:21]
	v_or_b32_e32 v3, v2, v0
.LBB4_569:                              ;   in Loop: Header=BB4_115 Depth=3
	s_or_b64 exec, exec, s[88:89]
                                        ; implicit-def: $vgpr0
.LBB4_570:                              ;   in Loop: Header=BB4_115 Depth=3
	s_andn2_saveexec_b64 s[20:21], s[78:79]
; %bb.571:                              ;   in Loop: Header=BB4_115 Depth=3
	v_or_b32_e32 v3, 0x7b, v0
; %bb.572:                              ;   in Loop: Header=BB4_115 Depth=3
	s_or_b64 exec, exec, s[20:21]
                                        ; implicit-def: $vgpr2
.LBB4_573:                              ;   in Loop: Header=BB4_115 Depth=3
	s_andn2_saveexec_b64 s[20:21], s[76:77]
	s_cbranch_execz .LBB4_114
; %bb.574:                              ;   in Loop: Header=BB4_115 Depth=3
	v_cmp_ne_u64_e32 vcc, 0, v[58:59]
                                        ; implicit-def: $vgpr3
	s_and_saveexec_b64 s[76:77], vcc
	s_xor_b64 s[76:77], exec, s[76:77]
; %bb.575:                              ;   in Loop: Header=BB4_115 Depth=3
	v_or_b32_sdwa v3, v2, s52 dst_sel:DWORD dst_unused:UNUSED_PAD src0_sel:BYTE_3 src1_sel:DWORD
                                        ; implicit-def: $vgpr2
; %bb.576:                              ;   in Loop: Header=BB4_115 Depth=3
	s_andn2_saveexec_b64 s[76:77], s[76:77]
	s_cbranch_execz .LBB4_113
; %bb.577:                              ;   in Loop: Header=BB4_115 Depth=3
	v_cmp_lt_i32_e32 vcc, -1, v2
	v_cndmask_b32_e32 v3, v49, v31, vcc
	s_branch .LBB4_113
.LBB4_578:                              ;   in Loop: Header=BB4_70 Depth=2
	s_or_b64 exec, exec, s[74:75]
	buffer_load_dword v44, off, s[0:3], s32 offset:116 ; 4-byte Folded Reload
	buffer_load_dword v45, off, s[0:3], s32 offset:120 ; 4-byte Folded Reload
	;; [unrolled: 1-line block ×4, first 2 shown]
	s_or_b64 exec, exec, s[72:73]
	s_and_saveexec_b64 s[20:21], s[10:11]
	s_cbranch_execz .LBB4_107
.LBB4_579:                              ;   in Loop: Header=BB4_70 Depth=2
	s_and_saveexec_b64 s[72:73], s[42:43]
	s_xor_b64 s[72:73], exec, s[72:73]
	s_cbranch_execz .LBB4_594
; %bb.580:                              ;   in Loop: Header=BB4_70 Depth=2
	s_and_saveexec_b64 s[74:75], s[12:13]
	s_cbranch_execz .LBB4_593
; %bb.581:                              ;   in Loop: Header=BB4_70 Depth=2
	s_mov_b64 s[78:79], exec
	s_waitcnt vmcnt(0) lgkmcnt(0)
	v_mbcnt_lo_u32_b32 v0, s78, 0
	v_mbcnt_hi_u32_b32 v0, s79, v0
	v_cmp_eq_u32_e32 vcc, 0, v0
	buffer_wbinvl1_vol
	s_and_saveexec_b64 s[76:77], vcc
	s_cbranch_execz .LBB4_583
; %bb.582:                              ;   in Loop: Header=BB4_70 Depth=2
	s_bcnt1_i32_b64 s28, s[78:79]
	v_mov_b32_e32 v58, s28
	ds_add_u64 v0, v[58:59]
	s_trap 2
.LBB4_583:                              ;   in Loop: Header=BB4_70 Depth=2
	s_or_b64 exec, exec, s[76:77]
	s_trap 2
	ds_read_b64 v[2:3], v0
	s_waitcnt lgkmcnt(0)
	buffer_load_dword v0, off, s[0:3], s32 offset:128 ; 4-byte Folded Reload
	s_waitcnt vmcnt(0)
	v_add_co_u32_e32 v40, vcc, v40, v0
	v_addc_co_u32_e32 v41, vcc, 0, v41, vcc
	v_cmp_lt_u64_e32 vcc, v[2:3], v[40:41]
	s_and_saveexec_b64 s[76:77], vcc
	s_cbranch_execz .LBB4_592
; %bb.584:                              ;   in Loop: Header=BB4_70 Depth=2
	s_mov_b32 s28, 0
	s_mov_b64 s[78:79], 0
                                        ; implicit-def: $sgpr88_sgpr89
                                        ; implicit-def: $sgpr90_sgpr91
	s_branch .LBB4_586
.LBB4_585:                              ;   in Loop: Header=BB4_586 Depth=3
	s_or_b64 exec, exec, s[94:95]
	s_and_b64 s[92:93], exec, vcc
	s_or_b64 s[78:79], s[92:93], s[78:79]
	s_andn2_b64 s[88:89], s[88:89], exec
	s_and_b64 s[92:93], s[90:91], exec
	s_or_b64 s[88:89], s[88:89], s[92:93]
	s_andn2_b64 exec, exec, s[78:79]
	s_cbranch_execz .LBB4_590
.LBB4_586:                              ;   Parent Loop BB4_21 Depth=1
                                        ;     Parent Loop BB4_70 Depth=2
                                        ; =>    This Inner Loop Header: Depth=3
	s_add_i32 s28, s28, 1
	s_cmpk_lg_i32 s28, 0x2710
	s_cselect_b64 s[92:93], -1, 0
	s_and_b64 vcc, exec, s[92:93]
	s_cbranch_vccz .LBB4_588
; %bb.587:                              ;   in Loop: Header=BB4_586 Depth=3
	s_mov_b64 vcc, -1
	s_or_b64 s[90:91], s[90:91], exec
	s_and_saveexec_b64 s[94:95], s[92:93]
	s_cbranch_execz .LBB4_585
	s_branch .LBB4_589
.LBB4_588:                              ;   in Loop: Header=BB4_586 Depth=3
	s_trap 2
	ds_read_b64 v[2:3], v0
	s_andn2_b64 s[92:93], s[92:93], exec
	s_mov_b32 s28, 0
	s_waitcnt lgkmcnt(0)
	flat_load_dword v0, v[2:3] glc
	s_waitcnt vmcnt(0) lgkmcnt(0)
	buffer_wbinvl1_vol
	v_cmp_eq_u32_e32 vcc, 0, v0
	s_and_b64 s[94:95], vcc, exec
	s_or_b64 s[92:93], s[92:93], s[94:95]
	s_mov_b64 vcc, -1
	s_or_b64 s[90:91], s[90:91], exec
	s_and_saveexec_b64 s[94:95], s[92:93]
	s_cbranch_execz .LBB4_585
.LBB4_589:                              ;   in Loop: Header=BB4_586 Depth=3
	s_sleep 1
	s_trap 2
	ds_read_b64 v[2:3], v0
	s_waitcnt lgkmcnt(0)
	s_andn2_b64 s[90:91], s[90:91], exec
	v_cmp_ge_u64_e32 vcc, v[2:3], v[40:41]
	s_orn2_b64 vcc, vcc, exec
	s_branch .LBB4_585
.LBB4_590:                              ;   in Loop: Header=BB4_70 Depth=2
	s_or_b64 exec, exec, s[78:79]
	s_and_saveexec_b64 s[78:79], s[88:89]
	s_xor_b64 s[78:79], exec, s[78:79]
	s_cbranch_execz .LBB4_592
; %bb.591:                              ;   in Loop: Header=BB4_70 Depth=2
	v_mov_b32_e32 v0, 1
	ds_write_b32 v0, v0
	s_trap 2
.LBB4_592:                              ;   in Loop: Header=BB4_70 Depth=2
	s_or_b64 exec, exec, s[76:77]
	;;#ASMSTART
	s_wakeup
	;;#ASMEND
.LBB4_593:                              ;   in Loop: Header=BB4_70 Depth=2
	s_or_b64 exec, exec, s[74:75]
.LBB4_594:                              ;   in Loop: Header=BB4_70 Depth=2
	s_andn2_saveexec_b64 s[72:73], s[72:73]
	s_cbranch_execz .LBB4_596
; %bb.595:                              ;   in Loop: Header=BB4_70 Depth=2
	s_waitcnt vmcnt(0) lgkmcnt(0)
	buffer_wbinvl1_vol
	s_barrier
.LBB4_596:                              ;   in Loop: Header=BB4_70 Depth=2
	s_or_b64 exec, exec, s[72:73]
	s_or_b64 exec, exec, s[20:21]
	s_and_saveexec_b64 s[20:21], s[16:17]
	s_cbranch_execnz .LBB4_108
	s_branch .LBB4_109
.LBB4_597:                              ;   in Loop: Header=BB4_21 Depth=1
	buffer_load_dword v10, off, s[0:3], s32 offset:148 ; 4-byte Folded Reload
	v_mov_b32_e32 v21, v46
	v_mov_b32_e32 v22, v47
	s_and_saveexec_b64 s[20:21], s[18:19]
	s_cbranch_execnz .LBB4_599
	s_branch .LBB4_1084
.LBB4_598:                              ;   in Loop: Header=BB4_21 Depth=1
	buffer_load_dword v7, off, s[0:3], s32 offset:200 ; 4-byte Folded Reload
	buffer_load_dword v10, off, s[0:3], s32 offset:148 ; 4-byte Folded Reload
	v_mov_b32_e32 v21, v46
	v_mov_b32_e32 v22, v47
	s_and_saveexec_b64 s[20:21], s[18:19]
	s_cbranch_execz .LBB4_1084
.LBB4_599:                              ;   in Loop: Header=BB4_21 Depth=1
	s_waitcnt lgkmcnt(0)
	flat_load_dword v0, v[44:45]
	buffer_load_dword v17, off, s[0:3], s32 offset:204 ; 4-byte Folded Reload
	buffer_load_dword v18, off, s[0:3], s32 offset:208 ; 4-byte Folded Reload
	;; [unrolled: 1-line block ×6, first 2 shown]
	v_add_u32_e32 v30, 1, v34
	s_mov_b64 s[72:73], 0
	s_waitcnt vmcnt(0) lgkmcnt(0)
	v_ashrrev_i32_e32 v4, 31, v0
	v_mov_b32_e32 v2, v19
	v_mov_b32_e32 v3, v20
	v_add_co_u32_e32 v2, vcc, v2, v7
	v_addc_co_u32_e32 v3, vcc, v3, v10, vcc
	v_mul_lo_u32 v5, v5, v0
	v_mul_lo_u32 v4, v6, v4
	v_mad_u64_u32 v[2:3], s[18:19], v6, v0, v[2:3]
	v_add3_u32 v0, v5, v3, v4
	buffer_load_dword v3, off, s[0:3], s32 offset:152 ; 4-byte Folded Reload
	s_waitcnt vmcnt(0)
	v_add_co_u32_e32 v5, vcc, v2, v3
	v_addc_co_u32_e32 v6, vcc, 0, v0, vcc
	buffer_load_dword v0, off, s[0:3], s32 offset:228 ; 4-byte Folded Reload
	s_waitcnt vmcnt(0)
	v_add_co_u32_e32 v46, vcc, v0, v7
	buffer_load_dword v0, off, s[0:3], s32 offset:232 ; 4-byte Folded Reload
	buffer_load_dword v17, off, s[0:3], s32 offset:100 ; 4-byte Folded Reload
	buffer_load_dword v18, off, s[0:3], s32 offset:104 ; 4-byte Folded Reload
	buffer_load_dword v56, off, s[0:3], s32 offset:60 ; 4-byte Folded Reload
	buffer_load_dword v57, off, s[0:3], s32 offset:64 ; 4-byte Folded Reload
	s_waitcnt vmcnt(4)
	v_addc_co_u32_e32 v47, vcc, v0, v10, vcc
	v_and_b32_e32 v0, 7, v34
	v_mul_lo_u32 v2, v0, s38
	v_ashrrev_i32_e32 v3, 31, v2
	v_lshlrev_b64 v[2:3], 4, v[2:3]
	s_waitcnt vmcnt(3)
	v_add_co_u32_e32 v7, vcc, v17, v2
	s_waitcnt vmcnt(2)
	v_addc_co_u32_e32 v29, vcc, v18, v3, vcc
	s_branch .LBB4_601
.LBB4_600:                              ;   in Loop: Header=BB4_601 Depth=2
	v_add_co_u32_e32 v5, vcc, v5, v26
	v_addc_co_u32_e32 v6, vcc, 0, v6, vcc
	v_add_co_u32_e32 v46, vcc, v46, v26
	v_addc_co_u32_e32 v47, vcc, 0, v47, vcc
	v_sub_u32_e32 v42, v42, v26
	v_cmp_gt_i32_e32 vcc, 1, v42
	s_or_b64 s[72:73], vcc, s[72:73]
	v_add_u32_e32 v56, v56, v1
	s_andn2_b64 exec, exec, s[72:73]
	s_cbranch_execz .LBB4_1083
.LBB4_601:                              ;   Parent Loop BB4_21 Depth=1
                                        ; =>  This Loop Header: Depth=2
                                        ;       Child Loop BB4_609 Depth 3
	v_and_b32_e32 v2, -4, v5
	v_mov_b32_e32 v3, v6
	global_load_dword v0, v[2:3], off glc slc
	v_min_u32_e32 v4, 8, v42
	v_and_b32_e32 v10, 3, v5
	v_add_u32_e32 v58, v10, v4
	v_cmp_lt_u32_e32 vcc, 4, v58
	v_mov_b32_e32 v24, 0
	v_mov_b32_e32 v33, 0
	s_and_saveexec_b64 s[18:19], vcc
	s_cbranch_execz .LBB4_603
; %bb.602:                              ;   in Loop: Header=BB4_601 Depth=2
	global_load_dword v33, v[2:3], off offset:4 glc slc
.LBB4_603:                              ;   in Loop: Header=BB4_601 Depth=2
	s_or_b64 exec, exec, s[18:19]
	v_cmp_lt_u64_e32 vcc, 8, v[58:59]
	s_and_saveexec_b64 s[18:19], vcc
	s_cbranch_execz .LBB4_605
; %bb.604:                              ;   in Loop: Header=BB4_601 Depth=2
	global_load_dword v24, v[2:3], off offset:8 glc slc
.LBB4_605:                              ;   in Loop: Header=BB4_601 Depth=2
	s_or_b64 exec, exec, s[18:19]
	s_waitcnt vmcnt(0)
	v_mov_b32_e32 v57, v59
	v_lshlrev_b64 v[2:3], 4, v[56:57]
	v_add_co_u32_e32 v27, vcc, v7, v2
	v_addc_co_u32_e32 v28, vcc, v29, v3, vcc
	global_load_dwordx4 v[17:20], v[27:28], off glc slc
	v_cmp_eq_u32_e32 vcc, 0, v9
	v_mov_b32_e32 v9, 1
	s_and_saveexec_b64 s[74:75], vcc
	s_cbranch_execz .LBB4_617
; %bb.606:                              ;   in Loop: Header=BB4_601 Depth=2
	s_waitcnt vmcnt(0)
	v_cmp_ne_u32_e32 vcc, v30, v18
	v_cmp_ne_u32_e64 s[18:19], v30, v20
	s_or_b64 s[18:19], vcc, s[18:19]
	v_mov_b32_e32 v9, 0
	s_and_saveexec_b64 s[76:77], s[18:19]
	s_cbranch_execz .LBB4_616
; %bb.607:                              ;   in Loop: Header=BB4_601 Depth=2
	s_mov_b32 s28, 1
	s_mov_b64 s[88:89], 0
                                        ; implicit-def: $sgpr78_sgpr79
                                        ; implicit-def: $sgpr90_sgpr91
	s_branch .LBB4_609
.LBB4_608:                              ;   in Loop: Header=BB4_609 Depth=3
	s_or_b64 exec, exec, s[94:95]
	s_and_b64 s[18:19], exec, s[18:19]
	s_or_b64 s[88:89], s[18:19], s[88:89]
	s_andn2_b64 s[18:19], s[78:79], exec
	s_and_b64 s[78:79], s[90:91], exec
	s_or_b64 s[78:79], s[18:19], s[78:79]
	s_andn2_b64 exec, exec, s[88:89]
	s_cbranch_execz .LBB4_613
.LBB4_609:                              ;   Parent Loop BB4_21 Depth=1
                                        ;     Parent Loop BB4_601 Depth=2
                                        ; =>    This Inner Loop Header: Depth=3
	global_load_dwordx4 v[17:20], v[27:28], off glc slc
	s_add_i32 s28, s28, 1
	s_mov_b64 s[18:19], -1
	s_cmpk_lg_i32 s28, 0x2710
	s_mov_b64 s[92:93], -1
                                        ; implicit-def: $vgpr2
	s_cbranch_scc0 .LBB4_611
; %bb.610:                              ;   in Loop: Header=BB4_609 Depth=3
	s_or_b64 s[90:91], s[90:91], exec
	s_and_saveexec_b64 s[94:95], s[92:93]
	s_cbranch_execz .LBB4_608
	s_branch .LBB4_612
.LBB4_611:                              ;   in Loop: Header=BB4_609 Depth=3
	s_trap 2
	ds_read_b64 v[2:3], v0
	s_mov_b32 s28, 0
	s_waitcnt vmcnt(0) lgkmcnt(0)
	flat_load_dword v2, v[2:3] glc
	s_waitcnt vmcnt(0) lgkmcnt(0)
	buffer_wbinvl1_vol
	v_cmp_eq_u32_e32 vcc, 0, v2
	s_orn2_b64 s[92:93], vcc, exec
	s_or_b64 s[90:91], s[90:91], exec
	s_and_saveexec_b64 s[94:95], s[92:93]
	s_cbranch_execz .LBB4_608
.LBB4_612:                              ;   in Loop: Header=BB4_609 Depth=3
	s_waitcnt vmcnt(0)
	v_cmp_eq_u32_e32 vcc, v30, v18
	v_cmp_eq_u32_e64 s[18:19], v30, v20
	s_and_b64 s[18:19], vcc, s[18:19]
	s_andn2_b64 s[90:91], s[90:91], exec
	s_orn2_b64 s[18:19], s[18:19], exec
	s_branch .LBB4_608
.LBB4_613:                              ;   in Loop: Header=BB4_601 Depth=2
	s_or_b64 exec, exec, s[88:89]
	v_mov_b32_e32 v9, 0
	s_and_saveexec_b64 s[18:19], s[78:79]
	s_xor_b64 s[18:19], exec, s[18:19]
	s_cbranch_execz .LBB4_615
; %bb.614:                              ;   in Loop: Header=BB4_601 Depth=2
	v_mov_b32_e32 v9, 1
	ds_write_b32 v0, v2
	s_trap 2
.LBB4_615:                              ;   in Loop: Header=BB4_601 Depth=2
	s_or_b64 exec, exec, s[18:19]
.LBB4_616:                              ;   in Loop: Header=BB4_601 Depth=2
	s_or_b64 exec, exec, s[76:77]
.LBB4_617:                              ;   in Loop: Header=BB4_601 Depth=2
	s_or_b64 exec, exec, s[74:75]
	v_lshlrev_b32_e32 v37, 3, v5
	s_waitcnt vmcnt(0)
	v_alignbit_b32 v58, v33, v0, v37
	s_waitcnt vmcnt(0)
	v_cmp_ne_u16_sdwa s[18:19], v17, v59 src0_sel:BYTE_0 src1_sel:DWORD
                                        ; implicit-def: $vgpr4
	s_and_saveexec_b64 s[74:75], s[14:15]
	s_xor_b64 s[74:75], exec, s[74:75]
	s_cbranch_execz .LBB4_635
; %bb.618:                              ;   in Loop: Header=BB4_601 Depth=2
	v_mov_b32_e32 v2, 0
	v_mov_b32_e32 v0, 0
	s_and_saveexec_b64 s[76:77], s[18:19]
	s_cbranch_execz .LBB4_626
; %bb.619:                              ;   in Loop: Header=BB4_601 Depth=2
	v_cmp_ne_u16_sdwa s[88:89], sext(v17), s48 src0_sel:BYTE_0 src1_sel:DWORD
	v_bfrev_b32_e32 v0, 1
	s_and_saveexec_b64 s[78:79], s[88:89]
	s_cbranch_execz .LBB4_625
; %bb.620:                              ;   in Loop: Header=BB4_601 Depth=2
	v_and_b32_e32 v0, 0x7c, v17
	v_and_b32_e32 v3, 3, v17
	v_cmp_ne_u32_e32 vcc, s49, v0
                                        ; implicit-def: $vgpr0
	s_and_saveexec_b64 s[88:89], vcc
	s_xor_b64 s[88:89], exec, s[88:89]
	s_cbranch_execz .LBB4_622
; %bb.621:                              ;   in Loop: Header=BB4_601 Depth=2
	v_ffbh_u32_e32 v4, v3
	v_min_u32_e32 v4, 32, v4
	v_bfe_u32 v0, v17, 2, 5
	v_subrev_u32_e32 v10, 29, v4
	v_lshlrev_b64 v[27:28], v10, v[17:18]
	v_sub_u32_e32 v4, 30, v4
	v_cmp_eq_u32_e32 vcc, 0, v0
	v_cndmask_b32_e32 v0, v0, v4, vcc
	v_lshlrev_b32_e32 v4, 24, v17
	v_and_b32_e32 v10, 3, v27
	v_and_b32_e32 v4, 0x80000000, v4
	v_cndmask_b32_e32 v3, v3, v10, vcc
	v_lshl_add_u32 v0, v0, 23, v4
	v_lshl_or_b32 v0, v3, 21, v0
	v_add_u32_e32 v0, 0x38000000, v0
                                        ; implicit-def: $vgpr3
.LBB4_622:                              ;   in Loop: Header=BB4_601 Depth=2
	s_andn2_saveexec_b64 s[88:89], s[88:89]
; %bb.623:                              ;   in Loop: Header=BB4_601 Depth=2
	v_cmp_gt_i16_sdwa vcc, sext(v17), v43 src0_sel:BYTE_0 src1_sel:DWORD
	v_cndmask_b32_e32 v0, v8, v54, vcc
	v_cmp_eq_u32_e32 vcc, 0, v3
	v_cndmask_b32_e32 v0, v55, v0, vcc
; %bb.624:                              ;   in Loop: Header=BB4_601 Depth=2
	s_or_b64 exec, exec, s[88:89]
.LBB4_625:                              ;   in Loop: Header=BB4_601 Depth=2
	s_or_b64 exec, exec, s[78:79]
.LBB4_626:                              ;   in Loop: Header=BB4_601 Depth=2
	s_or_b64 exec, exec, s[76:77]
	v_cmp_ne_u16_sdwa s[78:79], sext(v58), v59 src0_sel:BYTE_0 src1_sel:DWORD
	s_and_saveexec_b64 s[76:77], s[78:79]
	s_cbranch_execz .LBB4_634
; %bb.627:                              ;   in Loop: Header=BB4_601 Depth=2
	v_cmp_ne_u16_sdwa s[88:89], sext(v58), s48 src0_sel:BYTE_0 src1_sel:DWORD
	v_bfrev_b32_e32 v2, 1
	s_and_saveexec_b64 s[78:79], s[88:89]
	s_cbranch_execz .LBB4_633
; %bb.628:                              ;   in Loop: Header=BB4_601 Depth=2
	v_and_b32_e32 v2, 0x7c, v58
	v_and_b32_e32 v3, 3, v58
	v_cmp_ne_u32_e32 vcc, s49, v2
                                        ; implicit-def: $vgpr2
	s_and_saveexec_b64 s[88:89], vcc
	s_xor_b64 s[88:89], exec, s[88:89]
	s_cbranch_execz .LBB4_630
; %bb.629:                              ;   in Loop: Header=BB4_601 Depth=2
	v_ffbh_u32_e32 v4, v3
	v_min_u32_e32 v4, 32, v4
	v_bfe_u32 v2, v58, 2, 5
	v_subrev_u32_e32 v10, 29, v4
	v_lshlrev_b64 v[27:28], v10, v[58:59]
	v_sub_u32_e32 v4, 30, v4
	v_cmp_eq_u32_e32 vcc, 0, v2
	v_cndmask_b32_e32 v2, v2, v4, vcc
	v_lshlrev_b32_e32 v4, 24, v58
	v_and_b32_e32 v10, 3, v27
	v_and_b32_e32 v4, 0x80000000, v4
	v_cndmask_b32_e32 v3, v3, v10, vcc
	v_lshl_add_u32 v2, v2, 23, v4
	v_lshl_or_b32 v2, v3, 21, v2
	v_add_u32_e32 v2, 0x38000000, v2
                                        ; implicit-def: $vgpr3
.LBB4_630:                              ;   in Loop: Header=BB4_601 Depth=2
	s_andn2_saveexec_b64 s[88:89], s[88:89]
; %bb.631:                              ;   in Loop: Header=BB4_601 Depth=2
	v_cmp_gt_i16_sdwa vcc, sext(v58), v43 src0_sel:BYTE_0 src1_sel:DWORD
	v_cndmask_b32_e32 v2, v8, v54, vcc
	v_cmp_eq_u32_e32 vcc, 0, v3
	v_cndmask_b32_e32 v2, v55, v2, vcc
; %bb.632:                              ;   in Loop: Header=BB4_601 Depth=2
	s_or_b64 exec, exec, s[88:89]
.LBB4_633:                              ;   in Loop: Header=BB4_601 Depth=2
	s_or_b64 exec, exec, s[78:79]
.LBB4_634:                              ;   in Loop: Header=BB4_601 Depth=2
	s_or_b64 exec, exec, s[76:77]
	v_max_f32_e32 v2, v2, v2
	v_max_f32_e32 v0, v0, v0
	;; [unrolled: 1-line block ×3, first 2 shown]
.LBB4_635:                              ;   in Loop: Header=BB4_601 Depth=2
	s_andn2_saveexec_b64 s[74:75], s[74:75]
	s_cbranch_execz .LBB4_653
; %bb.636:                              ;   in Loop: Header=BB4_601 Depth=2
	v_mov_b32_e32 v2, 0
	v_mov_b32_e32 v0, 0
	s_and_saveexec_b64 s[76:77], s[18:19]
	s_cbranch_execz .LBB4_644
; %bb.637:                              ;   in Loop: Header=BB4_601 Depth=2
	v_cmp_ne_u16_sdwa s[78:79], sext(v17), s48 src0_sel:BYTE_0 src1_sel:DWORD
	v_bfrev_b32_e32 v0, 1
	s_and_saveexec_b64 s[18:19], s[78:79]
	s_cbranch_execz .LBB4_643
; %bb.638:                              ;   in Loop: Header=BB4_601 Depth=2
	v_and_b32_e32 v0, 0x7c, v17
	v_and_b32_e32 v3, 3, v17
	v_cmp_ne_u32_e32 vcc, s49, v0
                                        ; implicit-def: $vgpr0
	s_and_saveexec_b64 s[78:79], vcc
	s_xor_b64 s[78:79], exec, s[78:79]
	s_cbranch_execz .LBB4_640
; %bb.639:                              ;   in Loop: Header=BB4_601 Depth=2
	v_ffbh_u32_e32 v4, v3
	v_min_u32_e32 v4, 32, v4
	v_bfe_u32 v0, v17, 2, 5
	v_subrev_u32_e32 v10, 29, v4
	v_lshlrev_b64 v[27:28], v10, v[17:18]
	v_sub_u32_e32 v4, 30, v4
	v_cmp_eq_u32_e32 vcc, 0, v0
	v_cndmask_b32_e32 v0, v0, v4, vcc
	v_lshlrev_b32_e32 v4, 24, v17
	v_and_b32_e32 v10, 3, v27
	v_and_b32_e32 v4, 0x80000000, v4
	v_cndmask_b32_e32 v3, v3, v10, vcc
	v_lshl_add_u32 v0, v0, 23, v4
	v_lshl_or_b32 v0, v3, 21, v0
	v_add_u32_e32 v0, 0x38000000, v0
                                        ; implicit-def: $vgpr3
.LBB4_640:                              ;   in Loop: Header=BB4_601 Depth=2
	s_andn2_saveexec_b64 s[78:79], s[78:79]
; %bb.641:                              ;   in Loop: Header=BB4_601 Depth=2
	v_cmp_gt_i16_sdwa vcc, sext(v17), v43 src0_sel:BYTE_0 src1_sel:DWORD
	v_cndmask_b32_e32 v0, v8, v54, vcc
	v_cmp_eq_u32_e32 vcc, 0, v3
	v_cndmask_b32_e32 v0, v55, v0, vcc
; %bb.642:                              ;   in Loop: Header=BB4_601 Depth=2
	s_or_b64 exec, exec, s[78:79]
.LBB4_643:                              ;   in Loop: Header=BB4_601 Depth=2
	s_or_b64 exec, exec, s[18:19]
.LBB4_644:                              ;   in Loop: Header=BB4_601 Depth=2
	s_or_b64 exec, exec, s[76:77]
	v_cmp_ne_u16_sdwa s[76:77], sext(v58), v59 src0_sel:BYTE_0 src1_sel:DWORD
	s_and_saveexec_b64 s[18:19], s[76:77]
	s_cbranch_execz .LBB4_652
; %bb.645:                              ;   in Loop: Header=BB4_601 Depth=2
	v_cmp_ne_u16_sdwa s[78:79], sext(v58), s48 src0_sel:BYTE_0 src1_sel:DWORD
	v_bfrev_b32_e32 v2, 1
	s_and_saveexec_b64 s[76:77], s[78:79]
	s_cbranch_execz .LBB4_651
; %bb.646:                              ;   in Loop: Header=BB4_601 Depth=2
	v_and_b32_e32 v2, 0x7c, v58
	v_and_b32_e32 v3, 3, v58
	v_cmp_ne_u32_e32 vcc, s49, v2
                                        ; implicit-def: $vgpr2
	s_and_saveexec_b64 s[78:79], vcc
	s_xor_b64 s[78:79], exec, s[78:79]
	s_cbranch_execz .LBB4_648
; %bb.647:                              ;   in Loop: Header=BB4_601 Depth=2
	v_ffbh_u32_e32 v4, v3
	v_min_u32_e32 v4, 32, v4
	v_bfe_u32 v2, v58, 2, 5
	v_subrev_u32_e32 v10, 29, v4
	v_lshlrev_b64 v[27:28], v10, v[58:59]
	v_sub_u32_e32 v4, 30, v4
	v_cmp_eq_u32_e32 vcc, 0, v2
	v_cndmask_b32_e32 v2, v2, v4, vcc
	v_lshlrev_b32_e32 v4, 24, v58
	v_and_b32_e32 v10, 3, v27
	v_and_b32_e32 v4, 0x80000000, v4
	v_cndmask_b32_e32 v3, v3, v10, vcc
	v_lshl_add_u32 v2, v2, 23, v4
	v_lshl_or_b32 v2, v3, 21, v2
	v_add_u32_e32 v2, 0x38000000, v2
                                        ; implicit-def: $vgpr3
.LBB4_648:                              ;   in Loop: Header=BB4_601 Depth=2
	s_andn2_saveexec_b64 s[78:79], s[78:79]
; %bb.649:                              ;   in Loop: Header=BB4_601 Depth=2
	v_cmp_gt_i16_sdwa vcc, sext(v58), v43 src0_sel:BYTE_0 src1_sel:DWORD
	v_cndmask_b32_e32 v2, v8, v54, vcc
	v_cmp_eq_u32_e32 vcc, 0, v3
	v_cndmask_b32_e32 v2, v55, v2, vcc
; %bb.650:                              ;   in Loop: Header=BB4_601 Depth=2
	s_or_b64 exec, exec, s[78:79]
.LBB4_651:                              ;   in Loop: Header=BB4_601 Depth=2
	s_or_b64 exec, exec, s[76:77]
.LBB4_652:                              ;   in Loop: Header=BB4_601 Depth=2
	s_or_b64 exec, exec, s[18:19]
	v_max_f32_e32 v2, v2, v2
	v_max_f32_e32 v0, v0, v0
	v_min_f32_e32 v4, v0, v2
.LBB4_653:                              ;   in Loop: Header=BB4_601 Depth=2
	s_or_b64 exec, exec, s[74:75]
	v_and_b32_e32 v27, 0x7f800000, v4
	v_mov_b32_e32 v28, v59
	v_cmp_ne_u64_e32 vcc, s[58:59], v[27:28]
	v_and_b32_e32 v2, 0x7fffff, v4
	v_mov_b32_e32 v3, v59
                                        ; implicit-def: $vgpr10
	s_and_saveexec_b64 s[18:19], vcc
	s_xor_b64 s[74:75], exec, s[18:19]
	s_cbranch_execz .LBB4_667
; %bb.654:                              ;   in Loop: Header=BB4_601 Depth=2
	v_and_b32_e32 v27, 0x7fffffff, v4
	v_mov_b32_e32 v28, v59
	v_cmp_gt_u64_e32 vcc, s[60:61], v[27:28]
	v_and_b32_sdwa v0, v4, s50 dst_sel:DWORD dst_unused:UNUSED_PAD src0_sel:BYTE_3 src1_sel:DWORD
                                        ; implicit-def: $vgpr10
	s_and_saveexec_b64 s[18:19], vcc
	s_xor_b64 s[76:77], exec, s[18:19]
	s_cbranch_execz .LBB4_664
; %bb.655:                              ;   in Loop: Header=BB4_601 Depth=2
	v_mov_b32_e32 v10, 0
	v_cmp_ne_u32_e32 vcc, 0, v4
	s_and_saveexec_b64 s[78:79], vcc
	s_cbranch_execz .LBB4_663
; %bb.656:                              ;   in Loop: Header=BB4_601 Depth=2
	v_bfe_u32 v10, v4, 23, 8
	v_cmp_gt_u32_e64 s[18:19], s51, v10
	v_sub_u32_e32 v4, 0x71, v10
	v_cmp_eq_u32_e32 vcc, 0, v10
	v_cndmask_b32_e64 v4, 0, v4, s[18:19]
	v_cndmask_b32_e32 v18, v4, v25, vcc
	v_add_u32_e32 v4, 21, v18
	v_or_b32_e32 v23, 0x800000, v2
	v_lshlrev_b64 v[27:28], v4, -1
	v_cndmask_b32_e32 v2, v23, v2, vcc
	v_add_u32_e32 v4, 20, v18
	v_bfi_b32 v27, v27, 0, v2
	v_lshlrev_b64 v[38:39], v4, 1
	v_lshrrev_b64 v[2:3], v18, v[2:3]
	v_bfi_b32 v28, v28, 0, 0
	v_cmp_eq_u64_e64 s[18:19], v[27:28], v[38:39]
	v_mov_b32_e32 v4, v3
	v_mov_b32_e32 v3, v2
	s_and_saveexec_b64 s[88:89], s[18:19]
; %bb.657:                              ;   in Loop: Header=BB4_601 Depth=2
	v_bfe_u32 v3, v2, 21, 1
	v_add_co_u32_e64 v3, s[18:19], v2, v3
	v_add_co_u32_e64 v3, s[18:19], -1, v3
; %bb.658:                              ;   in Loop: Header=BB4_601 Depth=2
	s_or_b64 exec, exec, s[88:89]
	v_add_u32_e32 v4, 0xffffff81, v10
	v_cndmask_b32_e32 v4, v4, v48, vcc
	v_lshrrev_b32_e32 v10, 23, v2
	v_add3_u32 v18, v18, v4, v10
	v_add_u32_e32 v10, 14, v18
	v_and_b32_e32 v3, 0x1fffff, v3
	v_add_u32_e32 v2, v3, v2
	v_mov_b32_e32 v3, v59
	v_cmp_ne_u32_e32 vcc, 0, v10
                                        ; implicit-def: $vgpr4
	s_and_saveexec_b64 s[18:19], vcc
	s_xor_b64 s[18:19], exec, s[18:19]
; %bb.659:                              ;   in Loop: Header=BB4_601 Depth=2
	v_cmp_lt_u64_e32 vcc, s[62:63], v[2:3]
	v_add_u32_e32 v4, 15, v18
	v_cndmask_b32_e32 v4, v10, v4, vcc
	v_cndmask_b32_e64 v10, 0, 1, vcc
	v_lshrrev_b64 v[2:3], v10, v[2:3]
; %bb.660:                              ;   in Loop: Header=BB4_601 Depth=2
	s_andn2_saveexec_b64 s[18:19], s[18:19]
; %bb.661:                              ;   in Loop: Header=BB4_601 Depth=2
	v_bfe_u32 v4, v2, 23, 1
; %bb.662:                              ;   in Loop: Header=BB4_601 Depth=2
	s_or_b64 exec, exec, s[18:19]
	v_lshrrev_b64 v[2:3], 21, v[2:3]
	v_cmp_gt_i32_e32 vcc, 32, v4
	v_cndmask_b32_e32 v3, 0, v3, vcc
	v_cndmask_b32_e32 v2, 3, v2, vcc
	v_cmp_eq_u64_e64 s[18:19], 0, v[2:3]
	v_min_i32_e32 v3, 31, v4
	v_lshlrev_b32_e32 v3, 2, v3
	v_cmp_eq_u32_e32 vcc, 0, v4
	v_and_b32_e32 v3, 0xfc, v3
	v_and_or_b32 v2, v2, 3, v3
	s_and_b64 s[18:19], vcc, s[18:19]
	v_cndmask_b32_e64 v2, v2, 0, s[18:19]
	v_or_b32_e32 v10, v2, v0
.LBB4_663:                              ;   in Loop: Header=BB4_601 Depth=2
	s_or_b64 exec, exec, s[78:79]
                                        ; implicit-def: $vgpr0
.LBB4_664:                              ;   in Loop: Header=BB4_601 Depth=2
	s_andn2_saveexec_b64 s[18:19], s[76:77]
; %bb.665:                              ;   in Loop: Header=BB4_601 Depth=2
	v_or_b32_e32 v10, 0x7b, v0
; %bb.666:                              ;   in Loop: Header=BB4_601 Depth=2
	s_or_b64 exec, exec, s[18:19]
                                        ; implicit-def: $vgpr4
                                        ; implicit-def: $vgpr2_vgpr3
.LBB4_667:                              ;   in Loop: Header=BB4_601 Depth=2
	s_andn2_saveexec_b64 s[18:19], s[74:75]
	s_cbranch_execz .LBB4_673
; %bb.668:                              ;   in Loop: Header=BB4_601 Depth=2
	v_cmp_ne_u64_e32 vcc, 0, v[2:3]
                                        ; implicit-def: $vgpr10
	s_and_saveexec_b64 s[74:75], vcc
	s_xor_b64 s[74:75], exec, s[74:75]
; %bb.669:                              ;   in Loop: Header=BB4_601 Depth=2
	v_or_b32_sdwa v10, v4, s52 dst_sel:DWORD dst_unused:UNUSED_PAD src0_sel:BYTE_3 src1_sel:DWORD
                                        ; implicit-def: $vgpr4
; %bb.670:                              ;   in Loop: Header=BB4_601 Depth=2
	s_andn2_saveexec_b64 s[74:75], s[74:75]
; %bb.671:                              ;   in Loop: Header=BB4_601 Depth=2
	v_cmp_lt_i32_e32 vcc, -1, v4
	v_cndmask_b32_e32 v10, v49, v31, vcc
; %bb.672:                              ;   in Loop: Header=BB4_601 Depth=2
	s_or_b64 exec, exec, s[74:75]
.LBB4_673:                              ;   in Loop: Header=BB4_601 Depth=2
	s_or_b64 exec, exec, s[18:19]
	v_lshrrev_b16_e32 v2, 8, v17
	v_lshrrev_b16_e32 v27, 8, v58
	v_cmp_ne_u16_e32 vcc, 0, v2
                                        ; implicit-def: $vgpr4
	s_and_saveexec_b64 s[18:19], s[14:15]
	s_xor_b64 s[74:75], exec, s[18:19]
	s_cbranch_execz .LBB4_691
; %bb.674:                              ;   in Loop: Header=BB4_601 Depth=2
	v_mov_b32_e32 v4, 0
	v_mov_b32_e32 v0, 0
	s_and_saveexec_b64 s[76:77], vcc
	s_cbranch_execz .LBB4_682
; %bb.675:                              ;   in Loop: Header=BB4_601 Depth=2
	v_cmp_ne_u16_e64 s[18:19], s50, v2
	v_bfrev_b32_e32 v0, 1
	s_and_saveexec_b64 s[78:79], s[18:19]
	s_cbranch_execz .LBB4_681
; %bb.676:                              ;   in Loop: Header=BB4_601 Depth=2
	v_and_b32_e32 v0, 0x7c, v2
	v_and_b32_e32 v18, 3, v2
	v_cmp_ne_u32_e64 s[18:19], s49, v0
                                        ; implicit-def: $vgpr0
	s_and_saveexec_b64 s[88:89], s[18:19]
	s_xor_b64 s[88:89], exec, s[88:89]
	s_cbranch_execz .LBB4_678
; %bb.677:                              ;   in Loop: Header=BB4_601 Depth=2
	v_ffbh_u32_e32 v23, v18
	v_min_u32_e32 v23, 32, v23
	v_mov_b32_e32 v3, v59
	v_subrev_u32_e32 v28, 29, v23
	v_bfe_u32 v0, v2, 2, 5
	v_lshlrev_b64 v[2:3], v28, v[2:3]
	v_sub_u32_e32 v3, 30, v23
	v_cmp_eq_u32_e64 s[18:19], 0, v0
	v_cndmask_b32_e64 v0, v0, v3, s[18:19]
	v_lshlrev_b32_e32 v3, 16, v17
	v_and_b32_e32 v2, 3, v2
	v_and_b32_e32 v3, 0x80000000, v3
	v_cndmask_b32_e64 v2, v18, v2, s[18:19]
	v_lshl_add_u32 v0, v0, 23, v3
	v_lshl_or_b32 v0, v2, 21, v0
	v_add_u32_e32 v0, 0x38000000, v0
                                        ; implicit-def: $vgpr18
.LBB4_678:                              ;   in Loop: Header=BB4_601 Depth=2
	s_andn2_saveexec_b64 s[88:89], s[88:89]
; %bb.679:                              ;   in Loop: Header=BB4_601 Depth=2
	v_cmp_lt_i16_e64 s[18:19], -1, v17
	v_cndmask_b32_e64 v0, v8, v54, s[18:19]
	v_cmp_eq_u32_e64 s[18:19], 0, v18
	v_cndmask_b32_e64 v0, v55, v0, s[18:19]
; %bb.680:                              ;   in Loop: Header=BB4_601 Depth=2
	s_or_b64 exec, exec, s[88:89]
.LBB4_681:                              ;   in Loop: Header=BB4_601 Depth=2
	s_or_b64 exec, exec, s[78:79]
.LBB4_682:                              ;   in Loop: Header=BB4_601 Depth=2
	s_or_b64 exec, exec, s[76:77]
	v_cmp_ne_u16_e64 s[18:19], 0, v27
	s_and_saveexec_b64 s[76:77], s[18:19]
	s_cbranch_execz .LBB4_690
; %bb.683:                              ;   in Loop: Header=BB4_601 Depth=2
	v_cmp_ne_u16_e64 s[18:19], s50, v27
	v_bfrev_b32_e32 v4, 1
	s_and_saveexec_b64 s[78:79], s[18:19]
	s_cbranch_execz .LBB4_689
; %bb.684:                              ;   in Loop: Header=BB4_601 Depth=2
	v_and_b32_e32 v3, 0x7c, v27
	v_and_b32_e32 v2, 3, v27
	v_cmp_ne_u32_e64 s[18:19], s49, v3
                                        ; implicit-def: $vgpr4
	s_and_saveexec_b64 s[88:89], s[18:19]
	s_xor_b64 s[88:89], exec, s[88:89]
	s_cbranch_execz .LBB4_686
; %bb.685:                              ;   in Loop: Header=BB4_601 Depth=2
	v_ffbh_u32_e32 v3, v2
	v_min_u32_e32 v23, 32, v3
	v_mov_b32_e32 v28, v59
	v_subrev_u32_e32 v3, 29, v23
	v_lshlrev_b64 v[3:4], v3, v[27:28]
	v_bfe_u32 v18, v27, 2, 5
	v_and_b32_e32 v3, 3, v3
	v_cmp_eq_u32_e64 s[18:19], 0, v18
	v_sub_u32_e32 v4, 30, v23
	v_cndmask_b32_e64 v2, v2, v3, s[18:19]
	v_lshlrev_b32_e32 v3, 16, v58
	v_cndmask_b32_e64 v4, v18, v4, s[18:19]
	v_and_b32_e32 v3, 0x80000000, v3
	v_lshl_add_u32 v3, v4, 23, v3
	v_lshl_or_b32 v2, v2, 21, v3
	v_add_u32_e32 v4, 0x38000000, v2
                                        ; implicit-def: $vgpr2
.LBB4_686:                              ;   in Loop: Header=BB4_601 Depth=2
	s_andn2_saveexec_b64 s[88:89], s[88:89]
; %bb.687:                              ;   in Loop: Header=BB4_601 Depth=2
	v_cmp_lt_i16_e64 s[18:19], -1, v58
	v_cndmask_b32_e64 v3, v8, v54, s[18:19]
	v_cmp_eq_u32_e64 s[18:19], 0, v2
	v_cndmask_b32_e64 v4, v55, v3, s[18:19]
; %bb.688:                              ;   in Loop: Header=BB4_601 Depth=2
	s_or_b64 exec, exec, s[88:89]
.LBB4_689:                              ;   in Loop: Header=BB4_601 Depth=2
	s_or_b64 exec, exec, s[78:79]
.LBB4_690:                              ;   in Loop: Header=BB4_601 Depth=2
	s_or_b64 exec, exec, s[76:77]
	v_max_f32_e32 v2, v4, v4
	v_max_f32_e32 v0, v0, v0
	;; [unrolled: 1-line block ×3, first 2 shown]
                                        ; implicit-def: $vgpr27
                                        ; implicit-def: $vgpr2
.LBB4_691:                              ;   in Loop: Header=BB4_601 Depth=2
	s_andn2_saveexec_b64 s[18:19], s[74:75]
	s_cbranch_execz .LBB4_709
; %bb.692:                              ;   in Loop: Header=BB4_601 Depth=2
	v_mov_b32_e32 v4, 0
	v_mov_b32_e32 v0, 0
	s_and_saveexec_b64 s[74:75], vcc
	s_cbranch_execz .LBB4_700
; %bb.693:                              ;   in Loop: Header=BB4_601 Depth=2
	v_cmp_ne_u16_e32 vcc, s50, v2
	v_bfrev_b32_e32 v0, 1
	s_and_saveexec_b64 s[76:77], vcc
	s_cbranch_execz .LBB4_699
; %bb.694:                              ;   in Loop: Header=BB4_601 Depth=2
	v_and_b32_e32 v0, 0x7c, v2
	v_and_b32_e32 v18, 3, v2
	v_cmp_ne_u32_e32 vcc, s49, v0
                                        ; implicit-def: $vgpr0
	s_and_saveexec_b64 s[78:79], vcc
	s_xor_b64 s[78:79], exec, s[78:79]
	s_cbranch_execz .LBB4_696
; %bb.695:                              ;   in Loop: Header=BB4_601 Depth=2
	v_ffbh_u32_e32 v23, v18
	v_min_u32_e32 v23, 32, v23
	v_mov_b32_e32 v3, v59
	v_subrev_u32_e32 v28, 29, v23
	v_bfe_u32 v0, v2, 2, 5
	v_lshlrev_b64 v[2:3], v28, v[2:3]
	v_sub_u32_e32 v3, 30, v23
	v_cmp_eq_u32_e32 vcc, 0, v0
	v_cndmask_b32_e32 v0, v0, v3, vcc
	v_lshlrev_b32_e32 v3, 16, v17
	v_and_b32_e32 v2, 3, v2
	v_and_b32_e32 v3, 0x80000000, v3
	v_cndmask_b32_e32 v2, v18, v2, vcc
	v_lshl_add_u32 v0, v0, 23, v3
	v_lshl_or_b32 v0, v2, 21, v0
	v_add_u32_e32 v0, 0x38000000, v0
                                        ; implicit-def: $vgpr18
.LBB4_696:                              ;   in Loop: Header=BB4_601 Depth=2
	s_andn2_saveexec_b64 s[78:79], s[78:79]
; %bb.697:                              ;   in Loop: Header=BB4_601 Depth=2
	v_cmp_lt_i16_e32 vcc, -1, v17
	v_cndmask_b32_e32 v0, v8, v54, vcc
	v_cmp_eq_u32_e32 vcc, 0, v18
	v_cndmask_b32_e32 v0, v55, v0, vcc
; %bb.698:                              ;   in Loop: Header=BB4_601 Depth=2
	s_or_b64 exec, exec, s[78:79]
.LBB4_699:                              ;   in Loop: Header=BB4_601 Depth=2
	s_or_b64 exec, exec, s[76:77]
.LBB4_700:                              ;   in Loop: Header=BB4_601 Depth=2
	s_or_b64 exec, exec, s[74:75]
	v_cmp_ne_u16_e32 vcc, 0, v27
	s_and_saveexec_b64 s[74:75], vcc
	s_cbranch_execz .LBB4_708
; %bb.701:                              ;   in Loop: Header=BB4_601 Depth=2
	v_cmp_ne_u16_e32 vcc, s50, v27
	v_bfrev_b32_e32 v4, 1
	s_and_saveexec_b64 s[76:77], vcc
	s_cbranch_execz .LBB4_707
; %bb.702:                              ;   in Loop: Header=BB4_601 Depth=2
	v_and_b32_e32 v3, 0x7c, v27
	v_and_b32_e32 v2, 3, v27
	v_cmp_ne_u32_e32 vcc, s49, v3
                                        ; implicit-def: $vgpr4
	s_and_saveexec_b64 s[78:79], vcc
	s_xor_b64 s[78:79], exec, s[78:79]
	s_cbranch_execz .LBB4_704
; %bb.703:                              ;   in Loop: Header=BB4_601 Depth=2
	v_ffbh_u32_e32 v3, v2
	v_min_u32_e32 v23, 32, v3
	v_mov_b32_e32 v28, v59
	v_subrev_u32_e32 v3, 29, v23
	v_lshlrev_b64 v[3:4], v3, v[27:28]
	v_bfe_u32 v18, v27, 2, 5
	v_and_b32_e32 v3, 3, v3
	v_cmp_eq_u32_e32 vcc, 0, v18
	v_sub_u32_e32 v4, 30, v23
	v_cndmask_b32_e32 v2, v2, v3, vcc
	v_lshlrev_b32_e32 v3, 16, v58
	v_cndmask_b32_e32 v4, v18, v4, vcc
	v_and_b32_e32 v3, 0x80000000, v3
	v_lshl_add_u32 v3, v4, 23, v3
	v_lshl_or_b32 v2, v2, 21, v3
	v_add_u32_e32 v4, 0x38000000, v2
                                        ; implicit-def: $vgpr2
.LBB4_704:                              ;   in Loop: Header=BB4_601 Depth=2
	s_andn2_saveexec_b64 s[78:79], s[78:79]
; %bb.705:                              ;   in Loop: Header=BB4_601 Depth=2
	v_cmp_lt_i16_e32 vcc, -1, v58
	v_cndmask_b32_e32 v3, v8, v54, vcc
	v_cmp_eq_u32_e32 vcc, 0, v2
	v_cndmask_b32_e32 v4, v55, v3, vcc
; %bb.706:                              ;   in Loop: Header=BB4_601 Depth=2
	s_or_b64 exec, exec, s[78:79]
.LBB4_707:                              ;   in Loop: Header=BB4_601 Depth=2
	s_or_b64 exec, exec, s[76:77]
.LBB4_708:                              ;   in Loop: Header=BB4_601 Depth=2
	s_or_b64 exec, exec, s[74:75]
	v_max_f32_e32 v2, v4, v4
	v_max_f32_e32 v0, v0, v0
	v_min_f32_e32 v4, v0, v2
.LBB4_709:                              ;   in Loop: Header=BB4_601 Depth=2
	s_or_b64 exec, exec, s[18:19]
	v_and_b32_e32 v27, 0x7f800000, v4
	v_mov_b32_e32 v28, v59
	v_cmp_ne_u64_e32 vcc, s[58:59], v[27:28]
	v_and_b32_e32 v2, 0x7fffff, v4
	v_mov_b32_e32 v3, v59
                                        ; implicit-def: $vgpr32
	s_and_saveexec_b64 s[18:19], vcc
	s_xor_b64 s[74:75], exec, s[18:19]
	s_cbranch_execz .LBB4_723
; %bb.710:                              ;   in Loop: Header=BB4_601 Depth=2
	v_and_b32_e32 v27, 0x7fffffff, v4
	v_mov_b32_e32 v28, v59
	v_cmp_gt_u64_e32 vcc, s[60:61], v[27:28]
	v_and_b32_sdwa v0, v4, s50 dst_sel:DWORD dst_unused:UNUSED_PAD src0_sel:BYTE_3 src1_sel:DWORD
                                        ; implicit-def: $vgpr32
	s_and_saveexec_b64 s[18:19], vcc
	s_xor_b64 s[76:77], exec, s[18:19]
	s_cbranch_execz .LBB4_720
; %bb.711:                              ;   in Loop: Header=BB4_601 Depth=2
	v_mov_b32_e32 v32, 0
	v_cmp_ne_u32_e32 vcc, 0, v4
	s_and_saveexec_b64 s[78:79], vcc
	s_cbranch_execz .LBB4_719
; %bb.712:                              ;   in Loop: Header=BB4_601 Depth=2
	v_bfe_u32 v18, v4, 23, 8
	v_cmp_gt_u32_e64 s[18:19], s51, v18
	v_sub_u32_e32 v4, 0x71, v18
	v_cmp_eq_u32_e32 vcc, 0, v18
	v_cndmask_b32_e64 v4, 0, v4, s[18:19]
	v_cndmask_b32_e32 v23, v4, v25, vcc
	v_or_b32_e32 v27, 0x800000, v2
	v_add_u32_e32 v4, 21, v23
	v_cndmask_b32_e32 v2, v27, v2, vcc
	v_lshlrev_b64 v[27:28], v4, -1
	v_add_u32_e32 v4, 20, v23
	v_bfi_b32 v27, v27, 0, v2
	v_lshlrev_b64 v[38:39], v4, 1
	v_lshrrev_b64 v[2:3], v23, v[2:3]
	v_bfi_b32 v28, v28, 0, 0
	v_cmp_eq_u64_e64 s[18:19], v[27:28], v[38:39]
	v_mov_b32_e32 v4, v3
	v_mov_b32_e32 v3, v2
	s_and_saveexec_b64 s[88:89], s[18:19]
; %bb.713:                              ;   in Loop: Header=BB4_601 Depth=2
	v_bfe_u32 v3, v2, 21, 1
	v_add_co_u32_e64 v3, s[18:19], v2, v3
	v_add_co_u32_e64 v3, s[18:19], -1, v3
; %bb.714:                              ;   in Loop: Header=BB4_601 Depth=2
	s_or_b64 exec, exec, s[88:89]
	v_add_u32_e32 v4, 0xffffff81, v18
	v_cndmask_b32_e32 v4, v4, v48, vcc
	v_lshrrev_b32_e32 v18, 23, v2
	v_add3_u32 v23, v23, v4, v18
	v_add_u32_e32 v18, 14, v23
	v_and_b32_e32 v3, 0x1fffff, v3
	v_add_u32_e32 v2, v3, v2
	v_mov_b32_e32 v3, v59
	v_cmp_ne_u32_e32 vcc, 0, v18
                                        ; implicit-def: $vgpr4
	s_and_saveexec_b64 s[18:19], vcc
	s_xor_b64 s[18:19], exec, s[18:19]
; %bb.715:                              ;   in Loop: Header=BB4_601 Depth=2
	v_cmp_lt_u64_e32 vcc, s[62:63], v[2:3]
	v_add_u32_e32 v4, 15, v23
	v_cndmask_b32_e32 v4, v18, v4, vcc
	v_cndmask_b32_e64 v18, 0, 1, vcc
	v_lshrrev_b64 v[2:3], v18, v[2:3]
; %bb.716:                              ;   in Loop: Header=BB4_601 Depth=2
	s_andn2_saveexec_b64 s[18:19], s[18:19]
; %bb.717:                              ;   in Loop: Header=BB4_601 Depth=2
	v_bfe_u32 v4, v2, 23, 1
; %bb.718:                              ;   in Loop: Header=BB4_601 Depth=2
	s_or_b64 exec, exec, s[18:19]
	v_lshrrev_b64 v[2:3], 21, v[2:3]
	v_cmp_gt_i32_e32 vcc, 32, v4
	v_cndmask_b32_e32 v3, 0, v3, vcc
	v_cndmask_b32_e32 v2, 3, v2, vcc
	v_cmp_eq_u64_e64 s[18:19], 0, v[2:3]
	v_min_i32_e32 v3, 31, v4
	v_lshlrev_b32_e32 v3, 2, v3
	v_cmp_eq_u32_e32 vcc, 0, v4
	v_and_b32_e32 v3, 0xfc, v3
	v_and_or_b32 v2, v2, 3, v3
	s_and_b64 s[18:19], vcc, s[18:19]
	v_cndmask_b32_e64 v2, v2, 0, s[18:19]
	v_or_b32_e32 v32, v2, v0
.LBB4_719:                              ;   in Loop: Header=BB4_601 Depth=2
	s_or_b64 exec, exec, s[78:79]
                                        ; implicit-def: $vgpr0
.LBB4_720:                              ;   in Loop: Header=BB4_601 Depth=2
	s_andn2_saveexec_b64 s[18:19], s[76:77]
; %bb.721:                              ;   in Loop: Header=BB4_601 Depth=2
	v_or_b32_e32 v32, 0x7b, v0
; %bb.722:                              ;   in Loop: Header=BB4_601 Depth=2
	s_or_b64 exec, exec, s[18:19]
                                        ; implicit-def: $vgpr4
                                        ; implicit-def: $vgpr2_vgpr3
.LBB4_723:                              ;   in Loop: Header=BB4_601 Depth=2
	s_andn2_saveexec_b64 s[18:19], s[74:75]
	s_cbranch_execz .LBB4_729
; %bb.724:                              ;   in Loop: Header=BB4_601 Depth=2
	v_cmp_ne_u64_e32 vcc, 0, v[2:3]
                                        ; implicit-def: $vgpr32
	s_and_saveexec_b64 s[74:75], vcc
	s_xor_b64 s[74:75], exec, s[74:75]
; %bb.725:                              ;   in Loop: Header=BB4_601 Depth=2
	v_or_b32_sdwa v32, v4, s52 dst_sel:DWORD dst_unused:UNUSED_PAD src0_sel:BYTE_3 src1_sel:DWORD
                                        ; implicit-def: $vgpr4
; %bb.726:                              ;   in Loop: Header=BB4_601 Depth=2
	s_andn2_saveexec_b64 s[74:75], s[74:75]
; %bb.727:                              ;   in Loop: Header=BB4_601 Depth=2
	v_cmp_lt_i32_e32 vcc, -1, v4
	v_cndmask_b32_e32 v32, v49, v31, vcc
; %bb.728:                              ;   in Loop: Header=BB4_601 Depth=2
	s_or_b64 exec, exec, s[74:75]
.LBB4_729:                              ;   in Loop: Header=BB4_601 Depth=2
	s_or_b64 exec, exec, s[18:19]
	v_lshrrev_b32_e32 v18, 16, v17
	v_lshrrev_b32_e32 v0, 16, v58
	v_cmp_ne_u16_sdwa s[18:19], v18, v59 src0_sel:BYTE_0 src1_sel:DWORD
                                        ; implicit-def: $vgpr4
	s_and_saveexec_b64 s[74:75], s[14:15]
	s_xor_b64 s[74:75], exec, s[74:75]
	s_cbranch_execz .LBB4_747
; %bb.730:                              ;   in Loop: Header=BB4_601 Depth=2
	v_mov_b32_e32 v3, 0
	v_mov_b32_e32 v2, 0
	s_and_saveexec_b64 s[76:77], s[18:19]
	s_cbranch_execz .LBB4_738
; %bb.731:                              ;   in Loop: Header=BB4_601 Depth=2
	v_cmp_ne_u16_sdwa s[88:89], v18, s50 src0_sel:BYTE_0 src1_sel:DWORD
	v_bfrev_b32_e32 v2, 1
	s_and_saveexec_b64 s[78:79], s[88:89]
	s_cbranch_execz .LBB4_737
; %bb.732:                              ;   in Loop: Header=BB4_601 Depth=2
	v_and_b32_e32 v2, 0x7c0000, v17
	v_bfe_u32 v4, v17, 16, 2
	v_cmp_ne_u32_e32 vcc, s53, v2
                                        ; implicit-def: $vgpr2
	s_and_saveexec_b64 s[88:89], vcc
	s_xor_b64 s[88:89], exec, s[88:89]
	s_cbranch_execz .LBB4_734
; %bb.733:                              ;   in Loop: Header=BB4_601 Depth=2
	v_ffbh_u32_e32 v23, v4
	v_min_u32_e32 v23, 32, v23
	v_subrev_u32_e32 v27, 29, v23
	v_bfe_u32 v2, v17, 18, 5
	v_lshlrev_b64 v[27:28], v27, v[18:19]
	v_sub_u32_e32 v23, 30, v23
	v_cmp_eq_u32_e32 vcc, 0, v2
	v_lshlrev_b32_e32 v18, 24, v18
	v_and_b32_e32 v27, 3, v27
	v_cndmask_b32_e32 v2, v2, v23, vcc
	v_and_b32_e32 v18, 0x80000000, v18
	v_cndmask_b32_e32 v4, v4, v27, vcc
	v_lshl_add_u32 v2, v2, 23, v18
	v_lshl_or_b32 v2, v4, 21, v2
	v_add_u32_e32 v2, 0x38000000, v2
                                        ; implicit-def: $vgpr4
                                        ; implicit-def: $vgpr18
.LBB4_734:                              ;   in Loop: Header=BB4_601 Depth=2
	s_andn2_saveexec_b64 s[88:89], s[88:89]
; %bb.735:                              ;   in Loop: Header=BB4_601 Depth=2
	v_cmp_gt_i16_sdwa vcc, sext(v18), v43 src0_sel:BYTE_0 src1_sel:DWORD
	v_cndmask_b32_e32 v2, v8, v54, vcc
	v_cmp_eq_u32_e32 vcc, 0, v4
	v_cndmask_b32_e32 v2, v55, v2, vcc
; %bb.736:                              ;   in Loop: Header=BB4_601 Depth=2
	s_or_b64 exec, exec, s[88:89]
.LBB4_737:                              ;   in Loop: Header=BB4_601 Depth=2
	s_or_b64 exec, exec, s[78:79]
.LBB4_738:                              ;   in Loop: Header=BB4_601 Depth=2
	s_or_b64 exec, exec, s[76:77]
	v_and_b32_sdwa v18, v58, s39 dst_sel:DWORD dst_unused:UNUSED_PAD src0_sel:WORD_1 src1_sel:DWORD
	v_lshrrev_b32_e32 v4, 16, v58
	v_cmp_ne_u16_e32 vcc, 0, v18
	s_and_saveexec_b64 s[76:77], vcc
	s_cbranch_execz .LBB4_746
; %bb.739:                              ;   in Loop: Header=BB4_601 Depth=2
	v_cmp_ne_u16_e32 vcc, s50, v18
	v_bfrev_b32_e32 v3, 1
	s_and_saveexec_b64 s[78:79], vcc
	s_cbranch_execz .LBB4_745
; %bb.740:                              ;   in Loop: Header=BB4_601 Depth=2
	v_and_b32_e32 v3, 0x7c0000, v58
	v_bfe_u32 v18, v58, 16, 2
	v_cmp_ne_u32_e32 vcc, s53, v3
                                        ; implicit-def: $vgpr3
	s_and_saveexec_b64 s[88:89], vcc
	s_xor_b64 s[88:89], exec, s[88:89]
	s_cbranch_execz .LBB4_742
; %bb.741:                              ;   in Loop: Header=BB4_601 Depth=2
	v_ffbh_u32_e32 v3, v18
	v_min_u32_e32 v27, 32, v3
	v_subrev_u32_e32 v3, 29, v27
	v_bfe_u32 v23, v58, 18, 5
	v_lshlrev_b64 v[3:4], v3, v[0:1]
	v_sub_u32_e32 v4, 30, v27
	v_cmp_eq_u32_e32 vcc, 0, v23
	v_lshlrev_b32_e32 v0, 24, v0
	v_and_b32_e32 v3, 3, v3
	v_cndmask_b32_e32 v4, v23, v4, vcc
	v_and_b32_e32 v0, 0x80000000, v0
	v_cndmask_b32_e32 v3, v18, v3, vcc
	v_lshl_add_u32 v0, v4, 23, v0
	v_lshl_or_b32 v0, v3, 21, v0
	v_add_u32_e32 v3, 0x38000000, v0
                                        ; implicit-def: $vgpr18
                                        ; implicit-def: $vgpr4
.LBB4_742:                              ;   in Loop: Header=BB4_601 Depth=2
	s_andn2_saveexec_b64 s[88:89], s[88:89]
; %bb.743:                              ;   in Loop: Header=BB4_601 Depth=2
	v_cmp_gt_i16_sdwa vcc, sext(v4), v43 src0_sel:BYTE_0 src1_sel:DWORD
	v_cndmask_b32_e32 v0, v8, v54, vcc
	v_cmp_eq_u32_e32 vcc, 0, v18
	v_cndmask_b32_e32 v3, v55, v0, vcc
; %bb.744:                              ;   in Loop: Header=BB4_601 Depth=2
	s_or_b64 exec, exec, s[88:89]
.LBB4_745:                              ;   in Loop: Header=BB4_601 Depth=2
	s_or_b64 exec, exec, s[78:79]
.LBB4_746:                              ;   in Loop: Header=BB4_601 Depth=2
	s_or_b64 exec, exec, s[76:77]
	v_max_f32_e32 v0, v3, v3
	v_max_f32_e32 v2, v2, v2
	;; [unrolled: 1-line block ×3, first 2 shown]
                                        ; implicit-def: $vgpr18
                                        ; implicit-def: $vgpr0
.LBB4_747:                              ;   in Loop: Header=BB4_601 Depth=2
	s_andn2_saveexec_b64 s[74:75], s[74:75]
	s_cbranch_execz .LBB4_765
; %bb.748:                              ;   in Loop: Header=BB4_601 Depth=2
	v_mov_b32_e32 v3, 0
	v_mov_b32_e32 v2, 0
	s_and_saveexec_b64 s[76:77], s[18:19]
	s_cbranch_execz .LBB4_756
; %bb.749:                              ;   in Loop: Header=BB4_601 Depth=2
	v_cmp_ne_u16_sdwa s[78:79], v18, s50 src0_sel:BYTE_0 src1_sel:DWORD
	v_bfrev_b32_e32 v2, 1
	s_and_saveexec_b64 s[18:19], s[78:79]
	s_cbranch_execz .LBB4_755
; %bb.750:                              ;   in Loop: Header=BB4_601 Depth=2
	v_and_b32_e32 v2, 0x7c0000, v17
	v_bfe_u32 v4, v17, 16, 2
	v_cmp_ne_u32_e32 vcc, s53, v2
                                        ; implicit-def: $vgpr2
	s_and_saveexec_b64 s[78:79], vcc
	s_xor_b64 s[78:79], exec, s[78:79]
	s_cbranch_execz .LBB4_752
; %bb.751:                              ;   in Loop: Header=BB4_601 Depth=2
	v_ffbh_u32_e32 v23, v4
	v_min_u32_e32 v23, 32, v23
	v_subrev_u32_e32 v27, 29, v23
	v_bfe_u32 v2, v17, 18, 5
	v_lshlrev_b64 v[27:28], v27, v[18:19]
	v_sub_u32_e32 v23, 30, v23
	v_cmp_eq_u32_e32 vcc, 0, v2
	v_lshlrev_b32_e32 v18, 24, v18
	v_and_b32_e32 v27, 3, v27
	v_cndmask_b32_e32 v2, v2, v23, vcc
	v_and_b32_e32 v18, 0x80000000, v18
	v_cndmask_b32_e32 v4, v4, v27, vcc
	v_lshl_add_u32 v2, v2, 23, v18
	v_lshl_or_b32 v2, v4, 21, v2
	v_add_u32_e32 v2, 0x38000000, v2
                                        ; implicit-def: $vgpr4
                                        ; implicit-def: $vgpr18
.LBB4_752:                              ;   in Loop: Header=BB4_601 Depth=2
	s_andn2_saveexec_b64 s[78:79], s[78:79]
; %bb.753:                              ;   in Loop: Header=BB4_601 Depth=2
	v_cmp_gt_i16_sdwa vcc, sext(v18), v43 src0_sel:BYTE_0 src1_sel:DWORD
	v_cndmask_b32_e32 v2, v8, v54, vcc
	v_cmp_eq_u32_e32 vcc, 0, v4
	v_cndmask_b32_e32 v2, v55, v2, vcc
; %bb.754:                              ;   in Loop: Header=BB4_601 Depth=2
	s_or_b64 exec, exec, s[78:79]
.LBB4_755:                              ;   in Loop: Header=BB4_601 Depth=2
	s_or_b64 exec, exec, s[18:19]
.LBB4_756:                              ;   in Loop: Header=BB4_601 Depth=2
	s_or_b64 exec, exec, s[76:77]
	v_and_b32_sdwa v18, v58, s39 dst_sel:DWORD dst_unused:UNUSED_PAD src0_sel:WORD_1 src1_sel:DWORD
	v_lshrrev_b32_e32 v4, 16, v58
	v_cmp_ne_u16_e32 vcc, 0, v18
	s_and_saveexec_b64 s[18:19], vcc
	s_cbranch_execz .LBB4_764
; %bb.757:                              ;   in Loop: Header=BB4_601 Depth=2
	v_cmp_ne_u16_e32 vcc, s50, v18
	v_bfrev_b32_e32 v3, 1
	s_and_saveexec_b64 s[76:77], vcc
	s_cbranch_execz .LBB4_763
; %bb.758:                              ;   in Loop: Header=BB4_601 Depth=2
	v_and_b32_e32 v3, 0x7c0000, v58
	v_bfe_u32 v18, v58, 16, 2
	v_cmp_ne_u32_e32 vcc, s53, v3
                                        ; implicit-def: $vgpr3
	s_and_saveexec_b64 s[78:79], vcc
	s_xor_b64 s[78:79], exec, s[78:79]
	s_cbranch_execz .LBB4_760
; %bb.759:                              ;   in Loop: Header=BB4_601 Depth=2
	v_ffbh_u32_e32 v3, v18
	v_min_u32_e32 v27, 32, v3
	v_subrev_u32_e32 v3, 29, v27
	v_bfe_u32 v23, v58, 18, 5
	v_lshlrev_b64 v[3:4], v3, v[0:1]
	v_sub_u32_e32 v4, 30, v27
	v_cmp_eq_u32_e32 vcc, 0, v23
	v_lshlrev_b32_e32 v0, 24, v0
	v_and_b32_e32 v3, 3, v3
	v_cndmask_b32_e32 v4, v23, v4, vcc
	v_and_b32_e32 v0, 0x80000000, v0
	v_cndmask_b32_e32 v3, v18, v3, vcc
	v_lshl_add_u32 v0, v4, 23, v0
	v_lshl_or_b32 v0, v3, 21, v0
	v_add_u32_e32 v3, 0x38000000, v0
                                        ; implicit-def: $vgpr18
                                        ; implicit-def: $vgpr4
.LBB4_760:                              ;   in Loop: Header=BB4_601 Depth=2
	s_andn2_saveexec_b64 s[78:79], s[78:79]
; %bb.761:                              ;   in Loop: Header=BB4_601 Depth=2
	v_cmp_gt_i16_sdwa vcc, sext(v4), v43 src0_sel:BYTE_0 src1_sel:DWORD
	v_cndmask_b32_e32 v0, v8, v54, vcc
	v_cmp_eq_u32_e32 vcc, 0, v18
	v_cndmask_b32_e32 v3, v55, v0, vcc
; %bb.762:                              ;   in Loop: Header=BB4_601 Depth=2
	s_or_b64 exec, exec, s[78:79]
.LBB4_763:                              ;   in Loop: Header=BB4_601 Depth=2
	s_or_b64 exec, exec, s[76:77]
.LBB4_764:                              ;   in Loop: Header=BB4_601 Depth=2
	s_or_b64 exec, exec, s[18:19]
	v_max_f32_e32 v0, v3, v3
	v_max_f32_e32 v2, v2, v2
	v_min_f32_e32 v4, v2, v0
.LBB4_765:                              ;   in Loop: Header=BB4_601 Depth=2
	s_or_b64 exec, exec, s[74:75]
	v_and_b32_e32 v27, 0x7f800000, v4
	v_mov_b32_e32 v28, v59
	v_cmp_ne_u64_e32 vcc, s[58:59], v[27:28]
	v_and_b32_e32 v2, 0x7fffff, v4
	v_mov_b32_e32 v3, v59
                                        ; implicit-def: $vgpr23
	s_and_saveexec_b64 s[18:19], vcc
	s_xor_b64 s[74:75], exec, s[18:19]
	s_cbranch_execz .LBB4_779
; %bb.766:                              ;   in Loop: Header=BB4_601 Depth=2
	v_and_b32_e32 v27, 0x7fffffff, v4
	v_mov_b32_e32 v28, v59
	v_cmp_gt_u64_e32 vcc, s[60:61], v[27:28]
	v_and_b32_sdwa v0, v4, s50 dst_sel:DWORD dst_unused:UNUSED_PAD src0_sel:BYTE_3 src1_sel:DWORD
                                        ; implicit-def: $vgpr23
	s_and_saveexec_b64 s[18:19], vcc
	s_xor_b64 s[76:77], exec, s[18:19]
	s_cbranch_execz .LBB4_776
; %bb.767:                              ;   in Loop: Header=BB4_601 Depth=2
	v_mov_b32_e32 v23, 0
	v_cmp_ne_u32_e32 vcc, 0, v4
	s_and_saveexec_b64 s[78:79], vcc
	s_cbranch_execz .LBB4_775
; %bb.768:                              ;   in Loop: Header=BB4_601 Depth=2
	v_bfe_u32 v18, v4, 23, 8
	v_cmp_gt_u32_e64 s[18:19], s51, v18
	v_sub_u32_e32 v4, 0x71, v18
	v_cmp_eq_u32_e32 vcc, 0, v18
	v_cndmask_b32_e64 v4, 0, v4, s[18:19]
	v_cndmask_b32_e32 v23, v4, v25, vcc
	v_or_b32_e32 v27, 0x800000, v2
	v_add_u32_e32 v4, 21, v23
	v_cndmask_b32_e32 v2, v27, v2, vcc
	v_lshlrev_b64 v[27:28], v4, -1
	v_add_u32_e32 v4, 20, v23
	v_bfi_b32 v27, v27, 0, v2
	v_lshlrev_b64 v[38:39], v4, 1
	v_lshrrev_b64 v[2:3], v23, v[2:3]
	v_bfi_b32 v28, v28, 0, 0
	v_cmp_eq_u64_e64 s[18:19], v[27:28], v[38:39]
	v_mov_b32_e32 v4, v3
	v_mov_b32_e32 v3, v2
	s_and_saveexec_b64 s[88:89], s[18:19]
; %bb.769:                              ;   in Loop: Header=BB4_601 Depth=2
	v_bfe_u32 v3, v2, 21, 1
	v_add_co_u32_e64 v3, s[18:19], v2, v3
	v_add_co_u32_e64 v3, s[18:19], -1, v3
; %bb.770:                              ;   in Loop: Header=BB4_601 Depth=2
	s_or_b64 exec, exec, s[88:89]
	v_add_u32_e32 v4, 0xffffff81, v18
	v_cndmask_b32_e32 v4, v4, v48, vcc
	v_lshrrev_b32_e32 v18, 23, v2
	v_add3_u32 v23, v23, v4, v18
	v_add_u32_e32 v18, 14, v23
	v_and_b32_e32 v3, 0x1fffff, v3
	v_add_u32_e32 v2, v3, v2
	v_mov_b32_e32 v3, v59
	v_cmp_ne_u32_e32 vcc, 0, v18
                                        ; implicit-def: $vgpr4
	s_and_saveexec_b64 s[18:19], vcc
	s_xor_b64 s[18:19], exec, s[18:19]
; %bb.771:                              ;   in Loop: Header=BB4_601 Depth=2
	v_cmp_lt_u64_e32 vcc, s[62:63], v[2:3]
	v_add_u32_e32 v4, 15, v23
	v_cndmask_b32_e32 v4, v18, v4, vcc
	v_cndmask_b32_e64 v18, 0, 1, vcc
	v_lshrrev_b64 v[2:3], v18, v[2:3]
; %bb.772:                              ;   in Loop: Header=BB4_601 Depth=2
	s_andn2_saveexec_b64 s[18:19], s[18:19]
; %bb.773:                              ;   in Loop: Header=BB4_601 Depth=2
	v_bfe_u32 v4, v2, 23, 1
; %bb.774:                              ;   in Loop: Header=BB4_601 Depth=2
	s_or_b64 exec, exec, s[18:19]
	v_lshrrev_b64 v[2:3], 21, v[2:3]
	v_cmp_gt_i32_e32 vcc, 32, v4
	v_cndmask_b32_e32 v3, 0, v3, vcc
	v_cndmask_b32_e32 v2, 3, v2, vcc
	v_cmp_eq_u64_e64 s[18:19], 0, v[2:3]
	v_min_i32_e32 v3, 31, v4
	v_lshlrev_b32_e32 v3, 2, v3
	v_cmp_eq_u32_e32 vcc, 0, v4
	v_and_b32_e32 v3, 0xfc, v3
	v_and_or_b32 v2, v2, 3, v3
	s_and_b64 s[18:19], vcc, s[18:19]
	v_cndmask_b32_e64 v2, v2, 0, s[18:19]
	v_or_b32_e32 v23, v2, v0
.LBB4_775:                              ;   in Loop: Header=BB4_601 Depth=2
	s_or_b64 exec, exec, s[78:79]
                                        ; implicit-def: $vgpr0
.LBB4_776:                              ;   in Loop: Header=BB4_601 Depth=2
	s_andn2_saveexec_b64 s[18:19], s[76:77]
; %bb.777:                              ;   in Loop: Header=BB4_601 Depth=2
	v_or_b32_e32 v23, 0x7b, v0
; %bb.778:                              ;   in Loop: Header=BB4_601 Depth=2
	s_or_b64 exec, exec, s[18:19]
                                        ; implicit-def: $vgpr4
                                        ; implicit-def: $vgpr2_vgpr3
.LBB4_779:                              ;   in Loop: Header=BB4_601 Depth=2
	s_andn2_saveexec_b64 s[18:19], s[74:75]
	s_cbranch_execz .LBB4_785
; %bb.780:                              ;   in Loop: Header=BB4_601 Depth=2
	v_cmp_ne_u64_e32 vcc, 0, v[2:3]
                                        ; implicit-def: $vgpr23
	s_and_saveexec_b64 s[74:75], vcc
	s_xor_b64 s[74:75], exec, s[74:75]
; %bb.781:                              ;   in Loop: Header=BB4_601 Depth=2
	v_or_b32_sdwa v23, v4, s52 dst_sel:DWORD dst_unused:UNUSED_PAD src0_sel:BYTE_3 src1_sel:DWORD
                                        ; implicit-def: $vgpr4
; %bb.782:                              ;   in Loop: Header=BB4_601 Depth=2
	s_andn2_saveexec_b64 s[74:75], s[74:75]
; %bb.783:                              ;   in Loop: Header=BB4_601 Depth=2
	v_cmp_lt_i32_e32 vcc, -1, v4
	v_cndmask_b32_e32 v23, v49, v31, vcc
; %bb.784:                              ;   in Loop: Header=BB4_601 Depth=2
	s_or_b64 exec, exec, s[74:75]
.LBB4_785:                              ;   in Loop: Header=BB4_601 Depth=2
	s_or_b64 exec, exec, s[18:19]
	v_lshrrev_b32_e32 v18, 24, v17
	v_lshrrev_b32_e32 v0, 24, v58
	v_cmp_lt_u32_e32 vcc, s57, v17
                                        ; implicit-def: $vgpr2
	s_and_saveexec_b64 s[18:19], s[14:15]
	s_xor_b64 s[74:75], exec, s[18:19]
	s_cbranch_execz .LBB4_803
; %bb.786:                              ;   in Loop: Header=BB4_601 Depth=2
	v_mov_b32_e32 v3, 0
	v_mov_b32_e32 v2, 0
	s_and_saveexec_b64 s[76:77], vcc
	s_cbranch_execz .LBB4_794
; %bb.787:                              ;   in Loop: Header=BB4_601 Depth=2
	v_cmp_ne_u32_e64 s[18:19], s50, v18
	v_bfrev_b32_e32 v2, 1
	s_and_saveexec_b64 s[78:79], s[18:19]
	s_cbranch_execz .LBB4_793
; %bb.788:                              ;   in Loop: Header=BB4_601 Depth=2
	v_and_b32_e32 v2, 0x7c000000, v17
	v_bfe_u32 v4, v17, 24, 2
	v_cmp_ne_u32_e64 s[18:19], s54, v2
                                        ; implicit-def: $vgpr2
	s_and_saveexec_b64 s[88:89], s[18:19]
	s_xor_b64 s[88:89], exec, s[88:89]
	s_cbranch_execz .LBB4_790
; %bb.789:                              ;   in Loop: Header=BB4_601 Depth=2
	v_ffbh_u32_e32 v27, v4
	v_min_u32_e32 v36, 32, v27
	v_subrev_u32_e32 v27, 29, v36
	v_bfe_u32 v2, v17, 26, 5
	v_lshlrev_b64 v[27:28], v27, v[18:19]
	v_sub_u32_e32 v18, 30, v36
	v_cmp_eq_u32_e64 s[18:19], 0, v2
	v_and_b32_e32 v27, 3, v27
	v_cndmask_b32_e64 v2, v2, v18, s[18:19]
	v_and_b32_e32 v17, 0x80000000, v17
	v_cndmask_b32_e64 v4, v4, v27, s[18:19]
	v_lshl_add_u32 v2, v2, 23, v17
	v_lshl_or_b32 v2, v4, 21, v2
	v_add_u32_e32 v2, 0x38000000, v2
                                        ; implicit-def: $vgpr4
.LBB4_790:                              ;   in Loop: Header=BB4_601 Depth=2
	s_andn2_saveexec_b64 s[88:89], s[88:89]
; %bb.791:                              ;   in Loop: Header=BB4_601 Depth=2
	v_cmp_lt_i32_e64 s[18:19], -1, v17
	v_cndmask_b32_e64 v2, v8, v54, s[18:19]
	v_cmp_eq_u32_e64 s[18:19], 0, v4
	v_cndmask_b32_e64 v2, v55, v2, s[18:19]
; %bb.792:                              ;   in Loop: Header=BB4_601 Depth=2
	s_or_b64 exec, exec, s[88:89]
.LBB4_793:                              ;   in Loop: Header=BB4_601 Depth=2
	s_or_b64 exec, exec, s[78:79]
.LBB4_794:                              ;   in Loop: Header=BB4_601 Depth=2
	s_or_b64 exec, exec, s[76:77]
	v_cmp_lt_u32_e64 s[18:19], s57, v58
	s_and_saveexec_b64 s[76:77], s[18:19]
	s_cbranch_execz .LBB4_802
; %bb.795:                              ;   in Loop: Header=BB4_601 Depth=2
	v_cmp_ne_u32_e64 s[18:19], s50, v0
	v_bfrev_b32_e32 v3, 1
	s_and_saveexec_b64 s[78:79], s[18:19]
	s_cbranch_execz .LBB4_801
; %bb.796:                              ;   in Loop: Header=BB4_601 Depth=2
	v_and_b32_e32 v3, 0x7c000000, v58
	v_bfe_u32 v4, v58, 24, 2
	v_cmp_ne_u32_e64 s[18:19], s54, v3
                                        ; implicit-def: $vgpr3
	s_and_saveexec_b64 s[88:89], s[18:19]
	s_xor_b64 s[88:89], exec, s[88:89]
	s_cbranch_execz .LBB4_798
; %bb.797:                              ;   in Loop: Header=BB4_601 Depth=2
	v_ffbh_u32_e32 v17, v4
	v_min_u32_e32 v27, 32, v17
	v_subrev_u32_e32 v17, 29, v27
	v_lshlrev_b64 v[17:18], v17, v[0:1]
	v_bfe_u32 v3, v58, 26, 5
	v_sub_u32_e32 v0, 30, v27
	v_and_b32_e32 v17, 3, v17
	v_cmp_eq_u32_e64 s[18:19], 0, v3
	v_cndmask_b32_e64 v0, v3, v0, s[18:19]
	v_cndmask_b32_e64 v3, v4, v17, s[18:19]
	v_and_b32_e32 v4, 0x80000000, v58
	v_lshl_add_u32 v0, v0, 23, v4
	v_lshl_or_b32 v0, v3, 21, v0
	v_add_u32_e32 v3, 0x38000000, v0
                                        ; implicit-def: $vgpr4
.LBB4_798:                              ;   in Loop: Header=BB4_601 Depth=2
	s_andn2_saveexec_b64 s[88:89], s[88:89]
; %bb.799:                              ;   in Loop: Header=BB4_601 Depth=2
	v_cmp_lt_i32_e64 s[18:19], -1, v58
	v_cndmask_b32_e64 v0, v8, v54, s[18:19]
	v_cmp_eq_u32_e64 s[18:19], 0, v4
	v_cndmask_b32_e64 v3, v55, v0, s[18:19]
; %bb.800:                              ;   in Loop: Header=BB4_601 Depth=2
	s_or_b64 exec, exec, s[88:89]
.LBB4_801:                              ;   in Loop: Header=BB4_601 Depth=2
	s_or_b64 exec, exec, s[78:79]
.LBB4_802:                              ;   in Loop: Header=BB4_601 Depth=2
	s_or_b64 exec, exec, s[76:77]
	v_max_f32_e32 v0, v3, v3
	v_max_f32_e32 v2, v2, v2
	;; [unrolled: 1-line block ×3, first 2 shown]
                                        ; implicit-def: $vgpr0
                                        ; implicit-def: $vgpr18
.LBB4_803:                              ;   in Loop: Header=BB4_601 Depth=2
	s_andn2_saveexec_b64 s[18:19], s[74:75]
	s_cbranch_execz .LBB4_821
; %bb.804:                              ;   in Loop: Header=BB4_601 Depth=2
	v_mov_b32_e32 v3, 0
	v_mov_b32_e32 v2, 0
	s_and_saveexec_b64 s[74:75], vcc
	s_cbranch_execz .LBB4_812
; %bb.805:                              ;   in Loop: Header=BB4_601 Depth=2
	v_cmp_ne_u32_e32 vcc, s50, v18
	v_bfrev_b32_e32 v2, 1
	s_and_saveexec_b64 s[76:77], vcc
	s_cbranch_execz .LBB4_811
; %bb.806:                              ;   in Loop: Header=BB4_601 Depth=2
	v_and_b32_e32 v2, 0x7c000000, v17
	v_bfe_u32 v4, v17, 24, 2
	v_cmp_ne_u32_e32 vcc, s54, v2
                                        ; implicit-def: $vgpr2
	s_and_saveexec_b64 s[78:79], vcc
	s_xor_b64 s[78:79], exec, s[78:79]
	s_cbranch_execz .LBB4_808
; %bb.807:                              ;   in Loop: Header=BB4_601 Depth=2
	v_ffbh_u32_e32 v27, v4
	v_min_u32_e32 v36, 32, v27
	v_subrev_u32_e32 v27, 29, v36
	v_bfe_u32 v2, v17, 26, 5
	v_lshlrev_b64 v[27:28], v27, v[18:19]
	v_sub_u32_e32 v18, 30, v36
	v_cmp_eq_u32_e32 vcc, 0, v2
	v_and_b32_e32 v27, 3, v27
	v_cndmask_b32_e32 v2, v2, v18, vcc
	v_and_b32_e32 v17, 0x80000000, v17
	v_cndmask_b32_e32 v4, v4, v27, vcc
	v_lshl_add_u32 v2, v2, 23, v17
	v_lshl_or_b32 v2, v4, 21, v2
	v_add_u32_e32 v2, 0x38000000, v2
                                        ; implicit-def: $vgpr4
.LBB4_808:                              ;   in Loop: Header=BB4_601 Depth=2
	s_andn2_saveexec_b64 s[78:79], s[78:79]
; %bb.809:                              ;   in Loop: Header=BB4_601 Depth=2
	v_cmp_lt_i32_e32 vcc, -1, v17
	v_cndmask_b32_e32 v2, v8, v54, vcc
	v_cmp_eq_u32_e32 vcc, 0, v4
	v_cndmask_b32_e32 v2, v55, v2, vcc
; %bb.810:                              ;   in Loop: Header=BB4_601 Depth=2
	s_or_b64 exec, exec, s[78:79]
.LBB4_811:                              ;   in Loop: Header=BB4_601 Depth=2
	s_or_b64 exec, exec, s[76:77]
.LBB4_812:                              ;   in Loop: Header=BB4_601 Depth=2
	s_or_b64 exec, exec, s[74:75]
	v_cmp_lt_u32_e32 vcc, s57, v58
	s_and_saveexec_b64 s[74:75], vcc
	s_cbranch_execz .LBB4_820
; %bb.813:                              ;   in Loop: Header=BB4_601 Depth=2
	v_cmp_ne_u32_e32 vcc, s50, v0
	v_bfrev_b32_e32 v3, 1
	s_and_saveexec_b64 s[76:77], vcc
	s_cbranch_execz .LBB4_819
; %bb.814:                              ;   in Loop: Header=BB4_601 Depth=2
	v_and_b32_e32 v3, 0x7c000000, v58
	v_bfe_u32 v4, v58, 24, 2
	v_cmp_ne_u32_e32 vcc, s54, v3
                                        ; implicit-def: $vgpr3
	s_and_saveexec_b64 s[78:79], vcc
	s_xor_b64 s[78:79], exec, s[78:79]
	s_cbranch_execz .LBB4_816
; %bb.815:                              ;   in Loop: Header=BB4_601 Depth=2
	v_ffbh_u32_e32 v17, v4
	v_min_u32_e32 v27, 32, v17
	v_subrev_u32_e32 v17, 29, v27
	v_lshlrev_b64 v[17:18], v17, v[0:1]
	v_bfe_u32 v3, v58, 26, 5
	v_sub_u32_e32 v0, 30, v27
	v_and_b32_e32 v17, 3, v17
	v_cmp_eq_u32_e32 vcc, 0, v3
	v_cndmask_b32_e32 v0, v3, v0, vcc
	v_cndmask_b32_e32 v3, v4, v17, vcc
	v_and_b32_e32 v4, 0x80000000, v58
	v_lshl_add_u32 v0, v0, 23, v4
	v_lshl_or_b32 v0, v3, 21, v0
	v_add_u32_e32 v3, 0x38000000, v0
                                        ; implicit-def: $vgpr4
.LBB4_816:                              ;   in Loop: Header=BB4_601 Depth=2
	s_andn2_saveexec_b64 s[78:79], s[78:79]
; %bb.817:                              ;   in Loop: Header=BB4_601 Depth=2
	v_cmp_lt_i32_e32 vcc, -1, v58
	v_cndmask_b32_e32 v0, v8, v54, vcc
	v_cmp_eq_u32_e32 vcc, 0, v4
	v_cndmask_b32_e32 v3, v55, v0, vcc
; %bb.818:                              ;   in Loop: Header=BB4_601 Depth=2
	s_or_b64 exec, exec, s[78:79]
.LBB4_819:                              ;   in Loop: Header=BB4_601 Depth=2
	s_or_b64 exec, exec, s[76:77]
.LBB4_820:                              ;   in Loop: Header=BB4_601 Depth=2
	s_or_b64 exec, exec, s[74:75]
	v_max_f32_e32 v0, v3, v3
	v_max_f32_e32 v2, v2, v2
	v_min_f32_e32 v2, v2, v0
.LBB4_821:                              ;   in Loop: Header=BB4_601 Depth=2
	s_or_b64 exec, exec, s[18:19]
	v_and_b32_e32 v3, 0x7f800000, v2
	v_mov_b32_e32 v4, v59
	v_cmp_ne_u64_e32 vcc, s[58:59], v[3:4]
	v_and_b32_e32 v58, 0x7fffff, v2
                                        ; implicit-def: $vgpr36
	s_and_saveexec_b64 s[18:19], vcc
	s_xor_b64 s[74:75], exec, s[18:19]
	s_cbranch_execz .LBB4_835
; %bb.822:                              ;   in Loop: Header=BB4_601 Depth=2
	v_and_b32_e32 v3, 0x7fffffff, v2
	v_mov_b32_e32 v4, v59
	v_cmp_gt_u64_e32 vcc, s[60:61], v[3:4]
	v_and_b32_sdwa v0, v2, s50 dst_sel:DWORD dst_unused:UNUSED_PAD src0_sel:BYTE_3 src1_sel:DWORD
                                        ; implicit-def: $vgpr36
	s_and_saveexec_b64 s[18:19], vcc
	s_xor_b64 s[76:77], exec, s[18:19]
	s_cbranch_execz .LBB4_832
; %bb.823:                              ;   in Loop: Header=BB4_601 Depth=2
	v_mov_b32_e32 v36, 0
	v_cmp_ne_u32_e32 vcc, 0, v2
	s_and_saveexec_b64 s[78:79], vcc
	s_cbranch_execz .LBB4_831
; %bb.824:                              ;   in Loop: Header=BB4_601 Depth=2
	v_bfe_u32 v17, v2, 23, 8
	v_cmp_gt_u32_e64 s[18:19], s51, v17
	v_sub_u32_e32 v2, 0x71, v17
	v_cmp_eq_u32_e32 vcc, 0, v17
	v_cndmask_b32_e64 v2, 0, v2, s[18:19]
	v_cndmask_b32_e32 v18, v2, v25, vcc
	v_or_b32_e32 v3, 0x800000, v58
	v_add_u32_e32 v2, 21, v18
	v_cndmask_b32_e32 v58, v3, v58, vcc
	v_lshlrev_b64 v[2:3], v2, -1
	v_add_u32_e32 v4, 20, v18
	v_lshlrev_b64 v[27:28], v4, 1
	v_bfi_b32 v3, v3, 0, 0
	v_bfi_b32 v2, v2, 0, v58
	v_cmp_eq_u64_e64 s[18:19], v[2:3], v[27:28]
	v_lshrrev_b64 v[2:3], v18, v[58:59]
	v_mov_b32_e32 v4, v3
	v_mov_b32_e32 v3, v2
	s_and_saveexec_b64 s[88:89], s[18:19]
; %bb.825:                              ;   in Loop: Header=BB4_601 Depth=2
	v_bfe_u32 v3, v2, 21, 1
	v_add_co_u32_e64 v3, s[18:19], v2, v3
	v_add_co_u32_e64 v3, s[18:19], -1, v3
; %bb.826:                              ;   in Loop: Header=BB4_601 Depth=2
	s_or_b64 exec, exec, s[88:89]
	v_add_u32_e32 v4, 0xffffff81, v17
	v_cndmask_b32_e32 v4, v4, v48, vcc
	v_lshrrev_b32_e32 v17, 23, v2
	v_add3_u32 v18, v18, v4, v17
	v_add_u32_e32 v17, 14, v18
	v_and_b32_e32 v3, 0x1fffff, v3
	v_add_u32_e32 v58, v3, v2
	v_cmp_ne_u32_e32 vcc, 0, v17
                                        ; implicit-def: $vgpr2_vgpr3
                                        ; implicit-def: $vgpr4
	s_and_saveexec_b64 s[18:19], vcc
	s_xor_b64 s[18:19], exec, s[18:19]
; %bb.827:                              ;   in Loop: Header=BB4_601 Depth=2
	v_cmp_lt_u64_e32 vcc, s[62:63], v[58:59]
	v_add_u32_e32 v2, 15, v18
	v_cndmask_b32_e32 v4, v17, v2, vcc
	v_cndmask_b32_e64 v2, 0, 1, vcc
	v_lshrrev_b64 v[2:3], v2, v[58:59]
; %bb.828:                              ;   in Loop: Header=BB4_601 Depth=2
	s_andn2_saveexec_b64 s[18:19], s[18:19]
; %bb.829:                              ;   in Loop: Header=BB4_601 Depth=2
	v_mov_b32_e32 v2, v58
	v_bfe_u32 v4, v58, 23, 1
	v_mov_b32_e32 v3, v59
; %bb.830:                              ;   in Loop: Header=BB4_601 Depth=2
	s_or_b64 exec, exec, s[18:19]
	v_lshrrev_b64 v[2:3], 21, v[2:3]
	v_cmp_gt_i32_e32 vcc, 32, v4
	v_cndmask_b32_e32 v3, 0, v3, vcc
	v_cndmask_b32_e32 v2, 3, v2, vcc
	v_cmp_eq_u64_e64 s[18:19], 0, v[2:3]
	v_min_i32_e32 v3, 31, v4
	v_lshlrev_b32_e32 v3, 2, v3
	v_cmp_eq_u32_e32 vcc, 0, v4
	v_and_b32_e32 v3, 0xfc, v3
	v_and_or_b32 v2, v2, 3, v3
	s_and_b64 s[18:19], vcc, s[18:19]
	v_cndmask_b32_e64 v2, v2, 0, s[18:19]
	v_or_b32_e32 v36, v2, v0
.LBB4_831:                              ;   in Loop: Header=BB4_601 Depth=2
	s_or_b64 exec, exec, s[78:79]
                                        ; implicit-def: $vgpr0
.LBB4_832:                              ;   in Loop: Header=BB4_601 Depth=2
	s_andn2_saveexec_b64 s[18:19], s[76:77]
; %bb.833:                              ;   in Loop: Header=BB4_601 Depth=2
	v_or_b32_e32 v36, 0x7b, v0
; %bb.834:                              ;   in Loop: Header=BB4_601 Depth=2
	s_or_b64 exec, exec, s[18:19]
                                        ; implicit-def: $vgpr2
.LBB4_835:                              ;   in Loop: Header=BB4_601 Depth=2
	s_andn2_saveexec_b64 s[18:19], s[74:75]
	s_cbranch_execz .LBB4_841
; %bb.836:                              ;   in Loop: Header=BB4_601 Depth=2
	v_cmp_ne_u64_e32 vcc, 0, v[58:59]
                                        ; implicit-def: $vgpr36
	s_and_saveexec_b64 s[74:75], vcc
	s_xor_b64 s[74:75], exec, s[74:75]
; %bb.837:                              ;   in Loop: Header=BB4_601 Depth=2
	v_or_b32_sdwa v36, v2, s52 dst_sel:DWORD dst_unused:UNUSED_PAD src0_sel:BYTE_3 src1_sel:DWORD
                                        ; implicit-def: $vgpr2
; %bb.838:                              ;   in Loop: Header=BB4_601 Depth=2
	s_andn2_saveexec_b64 s[74:75], s[74:75]
; %bb.839:                              ;   in Loop: Header=BB4_601 Depth=2
	v_cmp_lt_i32_e32 vcc, -1, v2
	v_cndmask_b32_e32 v36, v49, v31, vcc
; %bb.840:                              ;   in Loop: Header=BB4_601 Depth=2
	s_or_b64 exec, exec, s[74:75]
.LBB4_841:                              ;   in Loop: Header=BB4_601 Depth=2
	s_or_b64 exec, exec, s[18:19]
	v_alignbit_b32 v58, v24, v33, v37
	v_cmp_ne_u16_sdwa s[18:19], v19, v59 src0_sel:BYTE_0 src1_sel:DWORD
                                        ; implicit-def: $vgpr4
	s_and_saveexec_b64 s[74:75], s[14:15]
	s_xor_b64 s[74:75], exec, s[74:75]
	s_cbranch_execz .LBB4_859
; %bb.842:                              ;   in Loop: Header=BB4_601 Depth=2
	v_mov_b32_e32 v2, 0
	v_mov_b32_e32 v0, 0
	s_and_saveexec_b64 s[76:77], s[18:19]
	s_cbranch_execz .LBB4_850
; %bb.843:                              ;   in Loop: Header=BB4_601 Depth=2
	v_cmp_ne_u16_sdwa s[88:89], sext(v19), s48 src0_sel:BYTE_0 src1_sel:DWORD
	v_bfrev_b32_e32 v0, 1
	s_and_saveexec_b64 s[78:79], s[88:89]
	s_cbranch_execz .LBB4_849
; %bb.844:                              ;   in Loop: Header=BB4_601 Depth=2
	v_and_b32_e32 v0, 0x7c, v19
	v_and_b32_e32 v3, 3, v19
	v_cmp_ne_u32_e32 vcc, s49, v0
                                        ; implicit-def: $vgpr0
	s_and_saveexec_b64 s[88:89], vcc
	s_xor_b64 s[88:89], exec, s[88:89]
	s_cbranch_execz .LBB4_846
; %bb.845:                              ;   in Loop: Header=BB4_601 Depth=2
	v_ffbh_u32_e32 v4, v3
	v_min_u32_e32 v4, 32, v4
	v_bfe_u32 v0, v19, 2, 5
	v_subrev_u32_e32 v17, 29, v4
	v_lshlrev_b64 v[17:18], v17, v[19:20]
	v_sub_u32_e32 v4, 30, v4
	v_cmp_eq_u32_e32 vcc, 0, v0
	v_cndmask_b32_e32 v0, v0, v4, vcc
	v_lshlrev_b32_e32 v4, 24, v19
	v_and_b32_e32 v17, 3, v17
	v_and_b32_e32 v4, 0x80000000, v4
	v_cndmask_b32_e32 v3, v3, v17, vcc
	v_lshl_add_u32 v0, v0, 23, v4
	v_lshl_or_b32 v0, v3, 21, v0
	v_add_u32_e32 v0, 0x38000000, v0
                                        ; implicit-def: $vgpr3
.LBB4_846:                              ;   in Loop: Header=BB4_601 Depth=2
	s_andn2_saveexec_b64 s[88:89], s[88:89]
; %bb.847:                              ;   in Loop: Header=BB4_601 Depth=2
	v_cmp_gt_i16_sdwa vcc, sext(v19), v43 src0_sel:BYTE_0 src1_sel:DWORD
	v_cndmask_b32_e32 v0, v8, v54, vcc
	v_cmp_eq_u32_e32 vcc, 0, v3
	v_cndmask_b32_e32 v0, v55, v0, vcc
; %bb.848:                              ;   in Loop: Header=BB4_601 Depth=2
	s_or_b64 exec, exec, s[88:89]
.LBB4_849:                              ;   in Loop: Header=BB4_601 Depth=2
	s_or_b64 exec, exec, s[78:79]
.LBB4_850:                              ;   in Loop: Header=BB4_601 Depth=2
	s_or_b64 exec, exec, s[76:77]
	v_cmp_ne_u16_sdwa s[78:79], sext(v58), v59 src0_sel:BYTE_0 src1_sel:DWORD
	s_and_saveexec_b64 s[76:77], s[78:79]
	s_cbranch_execz .LBB4_858
; %bb.851:                              ;   in Loop: Header=BB4_601 Depth=2
	v_cmp_ne_u16_sdwa s[88:89], sext(v58), s48 src0_sel:BYTE_0 src1_sel:DWORD
	v_bfrev_b32_e32 v2, 1
	s_and_saveexec_b64 s[78:79], s[88:89]
	s_cbranch_execz .LBB4_857
; %bb.852:                              ;   in Loop: Header=BB4_601 Depth=2
	v_and_b32_e32 v2, 0x7c, v58
	v_and_b32_e32 v3, 3, v58
	v_cmp_ne_u32_e32 vcc, s49, v2
                                        ; implicit-def: $vgpr2
	s_and_saveexec_b64 s[88:89], vcc
	s_xor_b64 s[88:89], exec, s[88:89]
	s_cbranch_execz .LBB4_854
; %bb.853:                              ;   in Loop: Header=BB4_601 Depth=2
	v_ffbh_u32_e32 v4, v3
	v_min_u32_e32 v4, 32, v4
	v_bfe_u32 v2, v58, 2, 5
	v_subrev_u32_e32 v17, 29, v4
	v_lshlrev_b64 v[17:18], v17, v[58:59]
	v_sub_u32_e32 v4, 30, v4
	v_cmp_eq_u32_e32 vcc, 0, v2
	v_cndmask_b32_e32 v2, v2, v4, vcc
	v_lshlrev_b32_e32 v4, 24, v58
	v_and_b32_e32 v17, 3, v17
	v_and_b32_e32 v4, 0x80000000, v4
	v_cndmask_b32_e32 v3, v3, v17, vcc
	v_lshl_add_u32 v2, v2, 23, v4
	v_lshl_or_b32 v2, v3, 21, v2
	v_add_u32_e32 v2, 0x38000000, v2
                                        ; implicit-def: $vgpr3
.LBB4_854:                              ;   in Loop: Header=BB4_601 Depth=2
	s_andn2_saveexec_b64 s[88:89], s[88:89]
; %bb.855:                              ;   in Loop: Header=BB4_601 Depth=2
	v_cmp_gt_i16_sdwa vcc, sext(v58), v43 src0_sel:BYTE_0 src1_sel:DWORD
	v_cndmask_b32_e32 v2, v8, v54, vcc
	v_cmp_eq_u32_e32 vcc, 0, v3
	v_cndmask_b32_e32 v2, v55, v2, vcc
; %bb.856:                              ;   in Loop: Header=BB4_601 Depth=2
	s_or_b64 exec, exec, s[88:89]
.LBB4_857:                              ;   in Loop: Header=BB4_601 Depth=2
	s_or_b64 exec, exec, s[78:79]
.LBB4_858:                              ;   in Loop: Header=BB4_601 Depth=2
	s_or_b64 exec, exec, s[76:77]
	v_max_f32_e32 v2, v2, v2
	v_max_f32_e32 v0, v0, v0
	v_max_f32_e32 v4, v0, v2
.LBB4_859:                              ;   in Loop: Header=BB4_601 Depth=2
	s_andn2_saveexec_b64 s[74:75], s[74:75]
	s_cbranch_execz .LBB4_877
; %bb.860:                              ;   in Loop: Header=BB4_601 Depth=2
	v_mov_b32_e32 v2, 0
	v_mov_b32_e32 v0, 0
	s_and_saveexec_b64 s[76:77], s[18:19]
	s_cbranch_execz .LBB4_868
; %bb.861:                              ;   in Loop: Header=BB4_601 Depth=2
	v_cmp_ne_u16_sdwa s[78:79], sext(v19), s48 src0_sel:BYTE_0 src1_sel:DWORD
	v_bfrev_b32_e32 v0, 1
	s_and_saveexec_b64 s[18:19], s[78:79]
	s_cbranch_execz .LBB4_867
; %bb.862:                              ;   in Loop: Header=BB4_601 Depth=2
	v_and_b32_e32 v0, 0x7c, v19
	v_and_b32_e32 v3, 3, v19
	v_cmp_ne_u32_e32 vcc, s49, v0
                                        ; implicit-def: $vgpr0
	s_and_saveexec_b64 s[78:79], vcc
	s_xor_b64 s[78:79], exec, s[78:79]
	s_cbranch_execz .LBB4_864
; %bb.863:                              ;   in Loop: Header=BB4_601 Depth=2
	v_ffbh_u32_e32 v4, v3
	v_min_u32_e32 v4, 32, v4
	v_bfe_u32 v0, v19, 2, 5
	v_subrev_u32_e32 v17, 29, v4
	v_lshlrev_b64 v[17:18], v17, v[19:20]
	v_sub_u32_e32 v4, 30, v4
	v_cmp_eq_u32_e32 vcc, 0, v0
	v_cndmask_b32_e32 v0, v0, v4, vcc
	v_lshlrev_b32_e32 v4, 24, v19
	v_and_b32_e32 v17, 3, v17
	v_and_b32_e32 v4, 0x80000000, v4
	v_cndmask_b32_e32 v3, v3, v17, vcc
	v_lshl_add_u32 v0, v0, 23, v4
	v_lshl_or_b32 v0, v3, 21, v0
	v_add_u32_e32 v0, 0x38000000, v0
                                        ; implicit-def: $vgpr3
.LBB4_864:                              ;   in Loop: Header=BB4_601 Depth=2
	s_andn2_saveexec_b64 s[78:79], s[78:79]
; %bb.865:                              ;   in Loop: Header=BB4_601 Depth=2
	v_cmp_gt_i16_sdwa vcc, sext(v19), v43 src0_sel:BYTE_0 src1_sel:DWORD
	v_cndmask_b32_e32 v0, v8, v54, vcc
	v_cmp_eq_u32_e32 vcc, 0, v3
	v_cndmask_b32_e32 v0, v55, v0, vcc
; %bb.866:                              ;   in Loop: Header=BB4_601 Depth=2
	s_or_b64 exec, exec, s[78:79]
.LBB4_867:                              ;   in Loop: Header=BB4_601 Depth=2
	s_or_b64 exec, exec, s[18:19]
.LBB4_868:                              ;   in Loop: Header=BB4_601 Depth=2
	s_or_b64 exec, exec, s[76:77]
	v_cmp_ne_u16_sdwa s[76:77], sext(v58), v59 src0_sel:BYTE_0 src1_sel:DWORD
	s_and_saveexec_b64 s[18:19], s[76:77]
	s_cbranch_execz .LBB4_876
; %bb.869:                              ;   in Loop: Header=BB4_601 Depth=2
	v_cmp_ne_u16_sdwa s[78:79], sext(v58), s48 src0_sel:BYTE_0 src1_sel:DWORD
	v_bfrev_b32_e32 v2, 1
	s_and_saveexec_b64 s[76:77], s[78:79]
	s_cbranch_execz .LBB4_875
; %bb.870:                              ;   in Loop: Header=BB4_601 Depth=2
	v_and_b32_e32 v2, 0x7c, v58
	v_and_b32_e32 v3, 3, v58
	v_cmp_ne_u32_e32 vcc, s49, v2
                                        ; implicit-def: $vgpr2
	s_and_saveexec_b64 s[78:79], vcc
	s_xor_b64 s[78:79], exec, s[78:79]
	s_cbranch_execz .LBB4_872
; %bb.871:                              ;   in Loop: Header=BB4_601 Depth=2
	v_ffbh_u32_e32 v4, v3
	v_min_u32_e32 v4, 32, v4
	v_bfe_u32 v2, v58, 2, 5
	v_subrev_u32_e32 v17, 29, v4
	v_lshlrev_b64 v[17:18], v17, v[58:59]
	v_sub_u32_e32 v4, 30, v4
	v_cmp_eq_u32_e32 vcc, 0, v2
	v_cndmask_b32_e32 v2, v2, v4, vcc
	v_lshlrev_b32_e32 v4, 24, v58
	v_and_b32_e32 v17, 3, v17
	v_and_b32_e32 v4, 0x80000000, v4
	v_cndmask_b32_e32 v3, v3, v17, vcc
	v_lshl_add_u32 v2, v2, 23, v4
	v_lshl_or_b32 v2, v3, 21, v2
	v_add_u32_e32 v2, 0x38000000, v2
                                        ; implicit-def: $vgpr3
.LBB4_872:                              ;   in Loop: Header=BB4_601 Depth=2
	s_andn2_saveexec_b64 s[78:79], s[78:79]
; %bb.873:                              ;   in Loop: Header=BB4_601 Depth=2
	v_cmp_gt_i16_sdwa vcc, sext(v58), v43 src0_sel:BYTE_0 src1_sel:DWORD
	v_cndmask_b32_e32 v2, v8, v54, vcc
	v_cmp_eq_u32_e32 vcc, 0, v3
	v_cndmask_b32_e32 v2, v55, v2, vcc
; %bb.874:                              ;   in Loop: Header=BB4_601 Depth=2
	s_or_b64 exec, exec, s[78:79]
.LBB4_875:                              ;   in Loop: Header=BB4_601 Depth=2
	s_or_b64 exec, exec, s[76:77]
.LBB4_876:                              ;   in Loop: Header=BB4_601 Depth=2
	s_or_b64 exec, exec, s[18:19]
	v_max_f32_e32 v2, v2, v2
	v_max_f32_e32 v0, v0, v0
	v_min_f32_e32 v4, v0, v2
.LBB4_877:                              ;   in Loop: Header=BB4_601 Depth=2
	s_or_b64 exec, exec, s[74:75]
	v_and_b32_e32 v17, 0x7f800000, v4
	v_mov_b32_e32 v18, v59
	v_cmp_ne_u64_e32 vcc, s[58:59], v[17:18]
	v_and_b32_e32 v2, 0x7fffff, v4
	v_mov_b32_e32 v3, v59
                                        ; implicit-def: $vgpr20
	s_and_saveexec_b64 s[18:19], vcc
	s_xor_b64 s[74:75], exec, s[18:19]
	s_cbranch_execz .LBB4_891
; %bb.878:                              ;   in Loop: Header=BB4_601 Depth=2
	v_and_b32_e32 v17, 0x7fffffff, v4
	v_mov_b32_e32 v18, v59
	v_cmp_gt_u64_e32 vcc, s[60:61], v[17:18]
	v_and_b32_sdwa v0, v4, s50 dst_sel:DWORD dst_unused:UNUSED_PAD src0_sel:BYTE_3 src1_sel:DWORD
                                        ; implicit-def: $vgpr20
	s_and_saveexec_b64 s[18:19], vcc
	s_xor_b64 s[76:77], exec, s[18:19]
	s_cbranch_execz .LBB4_888
; %bb.879:                              ;   in Loop: Header=BB4_601 Depth=2
	v_mov_b32_e32 v20, 0
	v_cmp_ne_u32_e32 vcc, 0, v4
	s_and_saveexec_b64 s[78:79], vcc
	s_cbranch_execz .LBB4_887
; %bb.880:                              ;   in Loop: Header=BB4_601 Depth=2
	v_bfe_u32 v17, v4, 23, 8
	v_cmp_gt_u32_e64 s[18:19], s51, v17
	v_sub_u32_e32 v4, 0x71, v17
	v_cmp_eq_u32_e32 vcc, 0, v17
	v_cndmask_b32_e64 v4, 0, v4, s[18:19]
	v_cndmask_b32_e32 v18, v4, v25, vcc
	v_add_u32_e32 v4, 21, v18
	v_or_b32_e32 v20, 0x800000, v2
	v_lshlrev_b64 v[27:28], v4, -1
	v_cndmask_b32_e32 v2, v20, v2, vcc
	v_add_u32_e32 v4, 20, v18
	v_bfi_b32 v27, v27, 0, v2
	v_lshlrev_b64 v[37:38], v4, 1
	v_lshrrev_b64 v[2:3], v18, v[2:3]
	v_bfi_b32 v28, v28, 0, 0
	v_cmp_eq_u64_e64 s[18:19], v[27:28], v[37:38]
	v_mov_b32_e32 v4, v3
	v_mov_b32_e32 v3, v2
	s_and_saveexec_b64 s[88:89], s[18:19]
; %bb.881:                              ;   in Loop: Header=BB4_601 Depth=2
	v_bfe_u32 v3, v2, 21, 1
	v_add_co_u32_e64 v3, s[18:19], v2, v3
	v_add_co_u32_e64 v3, s[18:19], -1, v3
; %bb.882:                              ;   in Loop: Header=BB4_601 Depth=2
	s_or_b64 exec, exec, s[88:89]
	v_add_u32_e32 v4, 0xffffff81, v17
	v_cndmask_b32_e32 v4, v4, v48, vcc
	v_lshrrev_b32_e32 v17, 23, v2
	v_add3_u32 v18, v18, v4, v17
	v_add_u32_e32 v17, 14, v18
	v_and_b32_e32 v3, 0x1fffff, v3
	v_add_u32_e32 v2, v3, v2
	v_mov_b32_e32 v3, v59
	v_cmp_ne_u32_e32 vcc, 0, v17
                                        ; implicit-def: $vgpr4
	s_and_saveexec_b64 s[18:19], vcc
	s_xor_b64 s[18:19], exec, s[18:19]
; %bb.883:                              ;   in Loop: Header=BB4_601 Depth=2
	v_cmp_lt_u64_e32 vcc, s[62:63], v[2:3]
	v_add_u32_e32 v4, 15, v18
	v_cndmask_b32_e32 v4, v17, v4, vcc
	v_cndmask_b32_e64 v17, 0, 1, vcc
	v_lshrrev_b64 v[2:3], v17, v[2:3]
; %bb.884:                              ;   in Loop: Header=BB4_601 Depth=2
	s_andn2_saveexec_b64 s[18:19], s[18:19]
; %bb.885:                              ;   in Loop: Header=BB4_601 Depth=2
	v_bfe_u32 v4, v2, 23, 1
; %bb.886:                              ;   in Loop: Header=BB4_601 Depth=2
	s_or_b64 exec, exec, s[18:19]
	v_lshrrev_b64 v[2:3], 21, v[2:3]
	v_cmp_gt_i32_e32 vcc, 32, v4
	v_cndmask_b32_e32 v3, 0, v3, vcc
	v_cndmask_b32_e32 v2, 3, v2, vcc
	v_cmp_eq_u64_e64 s[18:19], 0, v[2:3]
	v_min_i32_e32 v3, 31, v4
	v_lshlrev_b32_e32 v3, 2, v3
	v_cmp_eq_u32_e32 vcc, 0, v4
	v_and_b32_e32 v3, 0xfc, v3
	v_and_or_b32 v2, v2, 3, v3
	s_and_b64 s[18:19], vcc, s[18:19]
	v_cndmask_b32_e64 v2, v2, 0, s[18:19]
	v_or_b32_e32 v20, v2, v0
.LBB4_887:                              ;   in Loop: Header=BB4_601 Depth=2
	s_or_b64 exec, exec, s[78:79]
                                        ; implicit-def: $vgpr0
.LBB4_888:                              ;   in Loop: Header=BB4_601 Depth=2
	s_andn2_saveexec_b64 s[18:19], s[76:77]
; %bb.889:                              ;   in Loop: Header=BB4_601 Depth=2
	v_or_b32_e32 v20, 0x7b, v0
; %bb.890:                              ;   in Loop: Header=BB4_601 Depth=2
	s_or_b64 exec, exec, s[18:19]
                                        ; implicit-def: $vgpr4
                                        ; implicit-def: $vgpr2_vgpr3
.LBB4_891:                              ;   in Loop: Header=BB4_601 Depth=2
	s_andn2_saveexec_b64 s[18:19], s[74:75]
	s_cbranch_execz .LBB4_897
; %bb.892:                              ;   in Loop: Header=BB4_601 Depth=2
	v_cmp_ne_u64_e32 vcc, 0, v[2:3]
                                        ; implicit-def: $vgpr20
	s_and_saveexec_b64 s[74:75], vcc
	s_xor_b64 s[74:75], exec, s[74:75]
; %bb.893:                              ;   in Loop: Header=BB4_601 Depth=2
	v_or_b32_sdwa v20, v4, s52 dst_sel:DWORD dst_unused:UNUSED_PAD src0_sel:BYTE_3 src1_sel:DWORD
                                        ; implicit-def: $vgpr4
; %bb.894:                              ;   in Loop: Header=BB4_601 Depth=2
	s_andn2_saveexec_b64 s[74:75], s[74:75]
; %bb.895:                              ;   in Loop: Header=BB4_601 Depth=2
	v_cmp_lt_i32_e32 vcc, -1, v4
	v_cndmask_b32_e32 v20, v49, v31, vcc
; %bb.896:                              ;   in Loop: Header=BB4_601 Depth=2
	s_or_b64 exec, exec, s[74:75]
.LBB4_897:                              ;   in Loop: Header=BB4_601 Depth=2
	s_or_b64 exec, exec, s[18:19]
	v_lshrrev_b16_e32 v2, 8, v19
	v_lshrrev_b16_e32 v17, 8, v58
	v_cmp_ne_u16_e32 vcc, 0, v2
                                        ; implicit-def: $vgpr4
	s_and_saveexec_b64 s[18:19], s[14:15]
	s_xor_b64 s[74:75], exec, s[18:19]
	s_cbranch_execz .LBB4_915
; %bb.898:                              ;   in Loop: Header=BB4_601 Depth=2
	v_mov_b32_e32 v4, 0
	v_mov_b32_e32 v0, 0
	s_and_saveexec_b64 s[76:77], vcc
	s_cbranch_execz .LBB4_906
; %bb.899:                              ;   in Loop: Header=BB4_601 Depth=2
	v_cmp_ne_u16_e64 s[18:19], s50, v2
	v_bfrev_b32_e32 v0, 1
	s_and_saveexec_b64 s[78:79], s[18:19]
	s_cbranch_execz .LBB4_905
; %bb.900:                              ;   in Loop: Header=BB4_601 Depth=2
	v_and_b32_e32 v0, 0x7c, v2
	v_and_b32_e32 v18, 3, v2
	v_cmp_ne_u32_e64 s[18:19], s49, v0
                                        ; implicit-def: $vgpr0
	s_and_saveexec_b64 s[88:89], s[18:19]
	s_xor_b64 s[88:89], exec, s[88:89]
	s_cbranch_execz .LBB4_902
; %bb.901:                              ;   in Loop: Header=BB4_601 Depth=2
	v_ffbh_u32_e32 v24, v18
	v_min_u32_e32 v24, 32, v24
	v_mov_b32_e32 v3, v59
	v_subrev_u32_e32 v27, 29, v24
	v_bfe_u32 v0, v2, 2, 5
	v_lshlrev_b64 v[2:3], v27, v[2:3]
	v_sub_u32_e32 v3, 30, v24
	v_cmp_eq_u32_e64 s[18:19], 0, v0
	v_cndmask_b32_e64 v0, v0, v3, s[18:19]
	v_lshlrev_b32_e32 v3, 16, v19
	v_and_b32_e32 v2, 3, v2
	v_and_b32_e32 v3, 0x80000000, v3
	v_cndmask_b32_e64 v2, v18, v2, s[18:19]
	v_lshl_add_u32 v0, v0, 23, v3
	v_lshl_or_b32 v0, v2, 21, v0
	v_add_u32_e32 v0, 0x38000000, v0
                                        ; implicit-def: $vgpr18
.LBB4_902:                              ;   in Loop: Header=BB4_601 Depth=2
	s_andn2_saveexec_b64 s[88:89], s[88:89]
; %bb.903:                              ;   in Loop: Header=BB4_601 Depth=2
	v_cmp_lt_i16_e64 s[18:19], -1, v19
	v_cndmask_b32_e64 v0, v8, v54, s[18:19]
	v_cmp_eq_u32_e64 s[18:19], 0, v18
	v_cndmask_b32_e64 v0, v55, v0, s[18:19]
; %bb.904:                              ;   in Loop: Header=BB4_601 Depth=2
	s_or_b64 exec, exec, s[88:89]
.LBB4_905:                              ;   in Loop: Header=BB4_601 Depth=2
	s_or_b64 exec, exec, s[78:79]
.LBB4_906:                              ;   in Loop: Header=BB4_601 Depth=2
	s_or_b64 exec, exec, s[76:77]
	v_cmp_ne_u16_e64 s[18:19], 0, v17
	s_and_saveexec_b64 s[76:77], s[18:19]
	s_cbranch_execz .LBB4_914
; %bb.907:                              ;   in Loop: Header=BB4_601 Depth=2
	v_cmp_ne_u16_e64 s[18:19], s50, v17
	v_bfrev_b32_e32 v4, 1
	s_and_saveexec_b64 s[78:79], s[18:19]
	s_cbranch_execz .LBB4_913
; %bb.908:                              ;   in Loop: Header=BB4_601 Depth=2
	v_and_b32_e32 v3, 0x7c, v17
	v_and_b32_e32 v2, 3, v17
	v_cmp_ne_u32_e64 s[18:19], s49, v3
                                        ; implicit-def: $vgpr4
	s_and_saveexec_b64 s[88:89], s[18:19]
	s_xor_b64 s[88:89], exec, s[88:89]
	s_cbranch_execz .LBB4_910
; %bb.909:                              ;   in Loop: Header=BB4_601 Depth=2
	v_ffbh_u32_e32 v3, v2
	v_min_u32_e32 v27, 32, v3
	v_mov_b32_e32 v18, v59
	v_subrev_u32_e32 v3, 29, v27
	v_lshlrev_b64 v[3:4], v3, v[17:18]
	v_bfe_u32 v24, v17, 2, 5
	v_and_b32_e32 v3, 3, v3
	v_cmp_eq_u32_e64 s[18:19], 0, v24
	v_sub_u32_e32 v4, 30, v27
	v_cndmask_b32_e64 v2, v2, v3, s[18:19]
	v_lshlrev_b32_e32 v3, 16, v58
	v_cndmask_b32_e64 v4, v24, v4, s[18:19]
	v_and_b32_e32 v3, 0x80000000, v3
	v_lshl_add_u32 v3, v4, 23, v3
	v_lshl_or_b32 v2, v2, 21, v3
	v_add_u32_e32 v4, 0x38000000, v2
                                        ; implicit-def: $vgpr2
.LBB4_910:                              ;   in Loop: Header=BB4_601 Depth=2
	s_andn2_saveexec_b64 s[88:89], s[88:89]
; %bb.911:                              ;   in Loop: Header=BB4_601 Depth=2
	v_cmp_lt_i16_e64 s[18:19], -1, v58
	v_cndmask_b32_e64 v3, v8, v54, s[18:19]
	v_cmp_eq_u32_e64 s[18:19], 0, v2
	v_cndmask_b32_e64 v4, v55, v3, s[18:19]
; %bb.912:                              ;   in Loop: Header=BB4_601 Depth=2
	s_or_b64 exec, exec, s[88:89]
.LBB4_913:                              ;   in Loop: Header=BB4_601 Depth=2
	s_or_b64 exec, exec, s[78:79]
.LBB4_914:                              ;   in Loop: Header=BB4_601 Depth=2
	s_or_b64 exec, exec, s[76:77]
	v_max_f32_e32 v2, v4, v4
	v_max_f32_e32 v0, v0, v0
	;; [unrolled: 1-line block ×3, first 2 shown]
                                        ; implicit-def: $vgpr17
                                        ; implicit-def: $vgpr2
.LBB4_915:                              ;   in Loop: Header=BB4_601 Depth=2
	s_andn2_saveexec_b64 s[18:19], s[74:75]
	s_cbranch_execz .LBB4_933
; %bb.916:                              ;   in Loop: Header=BB4_601 Depth=2
	v_mov_b32_e32 v4, 0
	v_mov_b32_e32 v0, 0
	s_and_saveexec_b64 s[74:75], vcc
	s_cbranch_execz .LBB4_924
; %bb.917:                              ;   in Loop: Header=BB4_601 Depth=2
	v_cmp_ne_u16_e32 vcc, s50, v2
	v_bfrev_b32_e32 v0, 1
	s_and_saveexec_b64 s[76:77], vcc
	s_cbranch_execz .LBB4_923
; %bb.918:                              ;   in Loop: Header=BB4_601 Depth=2
	v_and_b32_e32 v0, 0x7c, v2
	v_and_b32_e32 v18, 3, v2
	v_cmp_ne_u32_e32 vcc, s49, v0
                                        ; implicit-def: $vgpr0
	s_and_saveexec_b64 s[78:79], vcc
	s_xor_b64 s[78:79], exec, s[78:79]
	s_cbranch_execz .LBB4_920
; %bb.919:                              ;   in Loop: Header=BB4_601 Depth=2
	v_ffbh_u32_e32 v24, v18
	v_min_u32_e32 v24, 32, v24
	v_mov_b32_e32 v3, v59
	v_subrev_u32_e32 v27, 29, v24
	v_bfe_u32 v0, v2, 2, 5
	v_lshlrev_b64 v[2:3], v27, v[2:3]
	v_sub_u32_e32 v3, 30, v24
	v_cmp_eq_u32_e32 vcc, 0, v0
	v_cndmask_b32_e32 v0, v0, v3, vcc
	v_lshlrev_b32_e32 v3, 16, v19
	v_and_b32_e32 v2, 3, v2
	v_and_b32_e32 v3, 0x80000000, v3
	v_cndmask_b32_e32 v2, v18, v2, vcc
	v_lshl_add_u32 v0, v0, 23, v3
	v_lshl_or_b32 v0, v2, 21, v0
	v_add_u32_e32 v0, 0x38000000, v0
                                        ; implicit-def: $vgpr18
.LBB4_920:                              ;   in Loop: Header=BB4_601 Depth=2
	s_andn2_saveexec_b64 s[78:79], s[78:79]
; %bb.921:                              ;   in Loop: Header=BB4_601 Depth=2
	v_cmp_lt_i16_e32 vcc, -1, v19
	v_cndmask_b32_e32 v0, v8, v54, vcc
	v_cmp_eq_u32_e32 vcc, 0, v18
	v_cndmask_b32_e32 v0, v55, v0, vcc
; %bb.922:                              ;   in Loop: Header=BB4_601 Depth=2
	s_or_b64 exec, exec, s[78:79]
.LBB4_923:                              ;   in Loop: Header=BB4_601 Depth=2
	s_or_b64 exec, exec, s[76:77]
.LBB4_924:                              ;   in Loop: Header=BB4_601 Depth=2
	s_or_b64 exec, exec, s[74:75]
	v_cmp_ne_u16_e32 vcc, 0, v17
	s_and_saveexec_b64 s[74:75], vcc
	s_cbranch_execz .LBB4_932
; %bb.925:                              ;   in Loop: Header=BB4_601 Depth=2
	v_cmp_ne_u16_e32 vcc, s50, v17
	v_bfrev_b32_e32 v4, 1
	s_and_saveexec_b64 s[76:77], vcc
	s_cbranch_execz .LBB4_931
; %bb.926:                              ;   in Loop: Header=BB4_601 Depth=2
	v_and_b32_e32 v3, 0x7c, v17
	v_and_b32_e32 v2, 3, v17
	v_cmp_ne_u32_e32 vcc, s49, v3
                                        ; implicit-def: $vgpr4
	s_and_saveexec_b64 s[78:79], vcc
	s_xor_b64 s[78:79], exec, s[78:79]
	s_cbranch_execz .LBB4_928
; %bb.927:                              ;   in Loop: Header=BB4_601 Depth=2
	v_ffbh_u32_e32 v3, v2
	v_min_u32_e32 v27, 32, v3
	v_mov_b32_e32 v18, v59
	v_subrev_u32_e32 v3, 29, v27
	v_lshlrev_b64 v[3:4], v3, v[17:18]
	v_bfe_u32 v24, v17, 2, 5
	v_and_b32_e32 v3, 3, v3
	v_cmp_eq_u32_e32 vcc, 0, v24
	v_sub_u32_e32 v4, 30, v27
	v_cndmask_b32_e32 v2, v2, v3, vcc
	v_lshlrev_b32_e32 v3, 16, v58
	v_cndmask_b32_e32 v4, v24, v4, vcc
	v_and_b32_e32 v3, 0x80000000, v3
	v_lshl_add_u32 v3, v4, 23, v3
	v_lshl_or_b32 v2, v2, 21, v3
	v_add_u32_e32 v4, 0x38000000, v2
                                        ; implicit-def: $vgpr2
.LBB4_928:                              ;   in Loop: Header=BB4_601 Depth=2
	s_andn2_saveexec_b64 s[78:79], s[78:79]
; %bb.929:                              ;   in Loop: Header=BB4_601 Depth=2
	v_cmp_lt_i16_e32 vcc, -1, v58
	v_cndmask_b32_e32 v3, v8, v54, vcc
	v_cmp_eq_u32_e32 vcc, 0, v2
	v_cndmask_b32_e32 v4, v55, v3, vcc
; %bb.930:                              ;   in Loop: Header=BB4_601 Depth=2
	s_or_b64 exec, exec, s[78:79]
.LBB4_931:                              ;   in Loop: Header=BB4_601 Depth=2
	s_or_b64 exec, exec, s[76:77]
.LBB4_932:                              ;   in Loop: Header=BB4_601 Depth=2
	s_or_b64 exec, exec, s[74:75]
	v_max_f32_e32 v2, v4, v4
	v_max_f32_e32 v0, v0, v0
	v_min_f32_e32 v4, v0, v2
.LBB4_933:                              ;   in Loop: Header=BB4_601 Depth=2
	s_or_b64 exec, exec, s[18:19]
	v_and_b32_e32 v17, 0x7f800000, v4
	v_mov_b32_e32 v18, v59
	v_cmp_ne_u64_e32 vcc, s[58:59], v[17:18]
	v_and_b32_e32 v2, 0x7fffff, v4
	v_mov_b32_e32 v3, v59
                                        ; implicit-def: $vgpr24
	s_and_saveexec_b64 s[18:19], vcc
	s_xor_b64 s[74:75], exec, s[18:19]
	s_cbranch_execz .LBB4_947
; %bb.934:                              ;   in Loop: Header=BB4_601 Depth=2
	v_and_b32_e32 v17, 0x7fffffff, v4
	v_mov_b32_e32 v18, v59
	v_cmp_gt_u64_e32 vcc, s[60:61], v[17:18]
	v_and_b32_sdwa v0, v4, s50 dst_sel:DWORD dst_unused:UNUSED_PAD src0_sel:BYTE_3 src1_sel:DWORD
                                        ; implicit-def: $vgpr24
	s_and_saveexec_b64 s[18:19], vcc
	s_xor_b64 s[76:77], exec, s[18:19]
	s_cbranch_execz .LBB4_944
; %bb.935:                              ;   in Loop: Header=BB4_601 Depth=2
	v_mov_b32_e32 v24, 0
	v_cmp_ne_u32_e32 vcc, 0, v4
	s_and_saveexec_b64 s[78:79], vcc
	s_cbranch_execz .LBB4_943
; %bb.936:                              ;   in Loop: Header=BB4_601 Depth=2
	v_bfe_u32 v17, v4, 23, 8
	v_cmp_gt_u32_e64 s[18:19], s51, v17
	v_sub_u32_e32 v4, 0x71, v17
	v_cmp_eq_u32_e32 vcc, 0, v17
	v_cndmask_b32_e64 v4, 0, v4, s[18:19]
	v_cndmask_b32_e32 v18, v4, v25, vcc
	v_add_u32_e32 v4, 21, v18
	v_or_b32_e32 v24, 0x800000, v2
	v_lshlrev_b64 v[27:28], v4, -1
	v_cndmask_b32_e32 v2, v24, v2, vcc
	v_add_u32_e32 v4, 20, v18
	v_bfi_b32 v27, v27, 0, v2
	v_lshlrev_b64 v[37:38], v4, 1
	v_lshrrev_b64 v[2:3], v18, v[2:3]
	v_bfi_b32 v28, v28, 0, 0
	v_cmp_eq_u64_e64 s[18:19], v[27:28], v[37:38]
	v_mov_b32_e32 v4, v3
	v_mov_b32_e32 v3, v2
	s_and_saveexec_b64 s[88:89], s[18:19]
; %bb.937:                              ;   in Loop: Header=BB4_601 Depth=2
	v_bfe_u32 v3, v2, 21, 1
	v_add_co_u32_e64 v3, s[18:19], v2, v3
	v_add_co_u32_e64 v3, s[18:19], -1, v3
; %bb.938:                              ;   in Loop: Header=BB4_601 Depth=2
	s_or_b64 exec, exec, s[88:89]
	v_add_u32_e32 v4, 0xffffff81, v17
	v_cndmask_b32_e32 v4, v4, v48, vcc
	v_lshrrev_b32_e32 v17, 23, v2
	v_add3_u32 v18, v18, v4, v17
	v_add_u32_e32 v17, 14, v18
	v_and_b32_e32 v3, 0x1fffff, v3
	v_add_u32_e32 v2, v3, v2
	v_mov_b32_e32 v3, v59
	v_cmp_ne_u32_e32 vcc, 0, v17
                                        ; implicit-def: $vgpr4
	s_and_saveexec_b64 s[18:19], vcc
	s_xor_b64 s[18:19], exec, s[18:19]
; %bb.939:                              ;   in Loop: Header=BB4_601 Depth=2
	v_cmp_lt_u64_e32 vcc, s[62:63], v[2:3]
	v_add_u32_e32 v4, 15, v18
	v_cndmask_b32_e32 v4, v17, v4, vcc
	v_cndmask_b32_e64 v17, 0, 1, vcc
	v_lshrrev_b64 v[2:3], v17, v[2:3]
; %bb.940:                              ;   in Loop: Header=BB4_601 Depth=2
	s_andn2_saveexec_b64 s[18:19], s[18:19]
; %bb.941:                              ;   in Loop: Header=BB4_601 Depth=2
	v_bfe_u32 v4, v2, 23, 1
; %bb.942:                              ;   in Loop: Header=BB4_601 Depth=2
	s_or_b64 exec, exec, s[18:19]
	v_lshrrev_b64 v[2:3], 21, v[2:3]
	v_cmp_gt_i32_e32 vcc, 32, v4
	v_cndmask_b32_e32 v3, 0, v3, vcc
	v_cndmask_b32_e32 v2, 3, v2, vcc
	v_cmp_eq_u64_e64 s[18:19], 0, v[2:3]
	v_min_i32_e32 v3, 31, v4
	v_lshlrev_b32_e32 v3, 2, v3
	v_cmp_eq_u32_e32 vcc, 0, v4
	v_and_b32_e32 v3, 0xfc, v3
	v_and_or_b32 v2, v2, 3, v3
	s_and_b64 s[18:19], vcc, s[18:19]
	v_cndmask_b32_e64 v2, v2, 0, s[18:19]
	v_or_b32_e32 v24, v2, v0
.LBB4_943:                              ;   in Loop: Header=BB4_601 Depth=2
	s_or_b64 exec, exec, s[78:79]
                                        ; implicit-def: $vgpr0
.LBB4_944:                              ;   in Loop: Header=BB4_601 Depth=2
	s_andn2_saveexec_b64 s[18:19], s[76:77]
; %bb.945:                              ;   in Loop: Header=BB4_601 Depth=2
	v_or_b32_e32 v24, 0x7b, v0
; %bb.946:                              ;   in Loop: Header=BB4_601 Depth=2
	s_or_b64 exec, exec, s[18:19]
                                        ; implicit-def: $vgpr4
                                        ; implicit-def: $vgpr2_vgpr3
.LBB4_947:                              ;   in Loop: Header=BB4_601 Depth=2
	s_andn2_saveexec_b64 s[18:19], s[74:75]
	s_cbranch_execz .LBB4_953
; %bb.948:                              ;   in Loop: Header=BB4_601 Depth=2
	v_cmp_ne_u64_e32 vcc, 0, v[2:3]
                                        ; implicit-def: $vgpr24
	s_and_saveexec_b64 s[74:75], vcc
	s_xor_b64 s[74:75], exec, s[74:75]
; %bb.949:                              ;   in Loop: Header=BB4_601 Depth=2
	v_or_b32_sdwa v24, v4, s52 dst_sel:DWORD dst_unused:UNUSED_PAD src0_sel:BYTE_3 src1_sel:DWORD
                                        ; implicit-def: $vgpr4
; %bb.950:                              ;   in Loop: Header=BB4_601 Depth=2
	s_andn2_saveexec_b64 s[74:75], s[74:75]
; %bb.951:                              ;   in Loop: Header=BB4_601 Depth=2
	v_cmp_lt_i32_e32 vcc, -1, v4
	v_cndmask_b32_e32 v24, v49, v31, vcc
; %bb.952:                              ;   in Loop: Header=BB4_601 Depth=2
	s_or_b64 exec, exec, s[74:75]
.LBB4_953:                              ;   in Loop: Header=BB4_601 Depth=2
	s_or_b64 exec, exec, s[18:19]
	v_lshrrev_b32_e32 v17, 16, v19
	v_lshrrev_b32_e32 v0, 16, v58
	v_cmp_ne_u16_sdwa s[18:19], v17, v59 src0_sel:BYTE_0 src1_sel:DWORD
                                        ; implicit-def: $vgpr4
	s_and_saveexec_b64 s[74:75], s[14:15]
	s_xor_b64 s[74:75], exec, s[74:75]
	s_cbranch_execz .LBB4_971
; %bb.954:                              ;   in Loop: Header=BB4_601 Depth=2
	v_mov_b32_e32 v3, 0
	v_mov_b32_e32 v2, 0
	s_and_saveexec_b64 s[76:77], s[18:19]
	s_cbranch_execz .LBB4_962
; %bb.955:                              ;   in Loop: Header=BB4_601 Depth=2
	v_cmp_ne_u16_sdwa s[88:89], v17, s50 src0_sel:BYTE_0 src1_sel:DWORD
	v_bfrev_b32_e32 v2, 1
	s_and_saveexec_b64 s[78:79], s[88:89]
	s_cbranch_execz .LBB4_961
; %bb.956:                              ;   in Loop: Header=BB4_601 Depth=2
	v_and_b32_e32 v2, 0x7c0000, v19
	v_bfe_u32 v4, v19, 16, 2
	v_cmp_ne_u32_e32 vcc, s53, v2
                                        ; implicit-def: $vgpr2
	s_and_saveexec_b64 s[88:89], vcc
	s_xor_b64 s[88:89], exec, s[88:89]
	s_cbranch_execz .LBB4_958
; %bb.957:                              ;   in Loop: Header=BB4_601 Depth=2
	v_ffbh_u32_e32 v18, v4
	v_min_u32_e32 v18, 32, v18
	v_subrev_u32_e32 v27, 29, v18
	v_bfe_u32 v2, v19, 18, 5
	v_lshlrev_b64 v[27:28], v27, v[17:18]
	v_sub_u32_e32 v18, 30, v18
	v_cmp_eq_u32_e32 vcc, 0, v2
	v_lshlrev_b32_e32 v17, 24, v17
	v_and_b32_e32 v27, 3, v27
	v_cndmask_b32_e32 v2, v2, v18, vcc
	v_and_b32_e32 v17, 0x80000000, v17
	v_cndmask_b32_e32 v4, v4, v27, vcc
	v_lshl_add_u32 v2, v2, 23, v17
	v_lshl_or_b32 v2, v4, 21, v2
	v_add_u32_e32 v2, 0x38000000, v2
                                        ; implicit-def: $vgpr4
                                        ; implicit-def: $vgpr17
.LBB4_958:                              ;   in Loop: Header=BB4_601 Depth=2
	s_andn2_saveexec_b64 s[88:89], s[88:89]
; %bb.959:                              ;   in Loop: Header=BB4_601 Depth=2
	v_cmp_gt_i16_sdwa vcc, sext(v17), v43 src0_sel:BYTE_0 src1_sel:DWORD
	v_cndmask_b32_e32 v2, v8, v54, vcc
	v_cmp_eq_u32_e32 vcc, 0, v4
	v_cndmask_b32_e32 v2, v55, v2, vcc
; %bb.960:                              ;   in Loop: Header=BB4_601 Depth=2
	s_or_b64 exec, exec, s[88:89]
.LBB4_961:                              ;   in Loop: Header=BB4_601 Depth=2
	s_or_b64 exec, exec, s[78:79]
.LBB4_962:                              ;   in Loop: Header=BB4_601 Depth=2
	s_or_b64 exec, exec, s[76:77]
	v_and_b32_sdwa v4, v58, s39 dst_sel:DWORD dst_unused:UNUSED_PAD src0_sel:WORD_1 src1_sel:DWORD
	v_cmp_ne_u16_e32 vcc, 0, v4
	s_and_saveexec_b64 s[76:77], vcc
	s_cbranch_execz .LBB4_970
; %bb.963:                              ;   in Loop: Header=BB4_601 Depth=2
	v_cmp_ne_u16_e32 vcc, s50, v4
	v_bfrev_b32_e32 v3, 1
	s_and_saveexec_b64 s[78:79], vcc
	s_cbranch_execz .LBB4_969
; %bb.964:                              ;   in Loop: Header=BB4_601 Depth=2
	v_and_b32_e32 v3, 0x7c0000, v58
	v_bfe_u32 v4, v58, 16, 2
	v_cmp_ne_u32_e32 vcc, s53, v3
                                        ; implicit-def: $vgpr3
	s_and_saveexec_b64 s[88:89], vcc
	s_xor_b64 s[88:89], exec, s[88:89]
	s_cbranch_execz .LBB4_966
; %bb.965:                              ;   in Loop: Header=BB4_601 Depth=2
	v_ffbh_u32_e32 v17, v4
	v_min_u32_e32 v27, 32, v17
	v_subrev_u32_e32 v17, 29, v27
	v_bfe_u32 v3, v58, 18, 5
	v_lshlrev_b64 v[17:18], v17, v[0:1]
	v_sub_u32_e32 v18, 30, v27
	v_cmp_eq_u32_e32 vcc, 0, v3
	v_lshlrev_b32_e32 v0, 24, v0
	v_and_b32_e32 v17, 3, v17
	v_cndmask_b32_e32 v3, v3, v18, vcc
	v_and_b32_e32 v0, 0x80000000, v0
	v_cndmask_b32_e32 v4, v4, v17, vcc
	v_lshl_add_u32 v0, v3, 23, v0
	v_lshl_or_b32 v0, v4, 21, v0
	v_add_u32_e32 v3, 0x38000000, v0
                                        ; implicit-def: $vgpr4
                                        ; implicit-def: $vgpr0
.LBB4_966:                              ;   in Loop: Header=BB4_601 Depth=2
	s_andn2_saveexec_b64 s[88:89], s[88:89]
; %bb.967:                              ;   in Loop: Header=BB4_601 Depth=2
	v_cmp_gt_i16_sdwa vcc, sext(v0), v43 src0_sel:BYTE_0 src1_sel:DWORD
	v_cndmask_b32_e32 v0, v8, v54, vcc
	v_cmp_eq_u32_e32 vcc, 0, v4
	v_cndmask_b32_e32 v3, v55, v0, vcc
; %bb.968:                              ;   in Loop: Header=BB4_601 Depth=2
	s_or_b64 exec, exec, s[88:89]
.LBB4_969:                              ;   in Loop: Header=BB4_601 Depth=2
	s_or_b64 exec, exec, s[78:79]
.LBB4_970:                              ;   in Loop: Header=BB4_601 Depth=2
	s_or_b64 exec, exec, s[76:77]
	v_max_f32_e32 v0, v3, v3
	v_max_f32_e32 v2, v2, v2
	;; [unrolled: 1-line block ×3, first 2 shown]
                                        ; implicit-def: $vgpr17
                                        ; implicit-def: $vgpr0
.LBB4_971:                              ;   in Loop: Header=BB4_601 Depth=2
	s_andn2_saveexec_b64 s[74:75], s[74:75]
	s_cbranch_execz .LBB4_989
; %bb.972:                              ;   in Loop: Header=BB4_601 Depth=2
	v_mov_b32_e32 v3, 0
	v_mov_b32_e32 v2, 0
	s_and_saveexec_b64 s[76:77], s[18:19]
	s_cbranch_execz .LBB4_980
; %bb.973:                              ;   in Loop: Header=BB4_601 Depth=2
	v_cmp_ne_u16_sdwa s[78:79], v17, s50 src0_sel:BYTE_0 src1_sel:DWORD
	v_bfrev_b32_e32 v2, 1
	s_and_saveexec_b64 s[18:19], s[78:79]
	s_cbranch_execz .LBB4_979
; %bb.974:                              ;   in Loop: Header=BB4_601 Depth=2
	v_and_b32_e32 v2, 0x7c0000, v19
	v_bfe_u32 v4, v19, 16, 2
	v_cmp_ne_u32_e32 vcc, s53, v2
                                        ; implicit-def: $vgpr2
	s_and_saveexec_b64 s[78:79], vcc
	s_xor_b64 s[78:79], exec, s[78:79]
	s_cbranch_execz .LBB4_976
; %bb.975:                              ;   in Loop: Header=BB4_601 Depth=2
	v_ffbh_u32_e32 v18, v4
	v_min_u32_e32 v18, 32, v18
	v_subrev_u32_e32 v27, 29, v18
	v_bfe_u32 v2, v19, 18, 5
	v_lshlrev_b64 v[27:28], v27, v[17:18]
	v_sub_u32_e32 v18, 30, v18
	v_cmp_eq_u32_e32 vcc, 0, v2
	v_lshlrev_b32_e32 v17, 24, v17
	v_and_b32_e32 v27, 3, v27
	v_cndmask_b32_e32 v2, v2, v18, vcc
	v_and_b32_e32 v17, 0x80000000, v17
	v_cndmask_b32_e32 v4, v4, v27, vcc
	v_lshl_add_u32 v2, v2, 23, v17
	v_lshl_or_b32 v2, v4, 21, v2
	v_add_u32_e32 v2, 0x38000000, v2
                                        ; implicit-def: $vgpr4
                                        ; implicit-def: $vgpr17
.LBB4_976:                              ;   in Loop: Header=BB4_601 Depth=2
	s_andn2_saveexec_b64 s[78:79], s[78:79]
; %bb.977:                              ;   in Loop: Header=BB4_601 Depth=2
	v_cmp_gt_i16_sdwa vcc, sext(v17), v43 src0_sel:BYTE_0 src1_sel:DWORD
	v_cndmask_b32_e32 v2, v8, v54, vcc
	v_cmp_eq_u32_e32 vcc, 0, v4
	v_cndmask_b32_e32 v2, v55, v2, vcc
; %bb.978:                              ;   in Loop: Header=BB4_601 Depth=2
	s_or_b64 exec, exec, s[78:79]
.LBB4_979:                              ;   in Loop: Header=BB4_601 Depth=2
	s_or_b64 exec, exec, s[18:19]
.LBB4_980:                              ;   in Loop: Header=BB4_601 Depth=2
	s_or_b64 exec, exec, s[76:77]
	v_and_b32_sdwa v4, v58, s39 dst_sel:DWORD dst_unused:UNUSED_PAD src0_sel:WORD_1 src1_sel:DWORD
	v_cmp_ne_u16_e32 vcc, 0, v4
	s_and_saveexec_b64 s[18:19], vcc
	s_cbranch_execz .LBB4_988
; %bb.981:                              ;   in Loop: Header=BB4_601 Depth=2
	v_cmp_ne_u16_e32 vcc, s50, v4
	v_bfrev_b32_e32 v3, 1
	s_and_saveexec_b64 s[76:77], vcc
	s_cbranch_execz .LBB4_987
; %bb.982:                              ;   in Loop: Header=BB4_601 Depth=2
	v_and_b32_e32 v3, 0x7c0000, v58
	v_bfe_u32 v4, v58, 16, 2
	v_cmp_ne_u32_e32 vcc, s53, v3
                                        ; implicit-def: $vgpr3
	s_and_saveexec_b64 s[78:79], vcc
	s_xor_b64 s[78:79], exec, s[78:79]
	s_cbranch_execz .LBB4_984
; %bb.983:                              ;   in Loop: Header=BB4_601 Depth=2
	v_ffbh_u32_e32 v17, v4
	v_min_u32_e32 v27, 32, v17
	v_subrev_u32_e32 v17, 29, v27
	v_bfe_u32 v3, v58, 18, 5
	v_lshlrev_b64 v[17:18], v17, v[0:1]
	v_sub_u32_e32 v18, 30, v27
	v_cmp_eq_u32_e32 vcc, 0, v3
	v_lshlrev_b32_e32 v0, 24, v0
	v_and_b32_e32 v17, 3, v17
	v_cndmask_b32_e32 v3, v3, v18, vcc
	v_and_b32_e32 v0, 0x80000000, v0
	v_cndmask_b32_e32 v4, v4, v17, vcc
	v_lshl_add_u32 v0, v3, 23, v0
	v_lshl_or_b32 v0, v4, 21, v0
	v_add_u32_e32 v3, 0x38000000, v0
                                        ; implicit-def: $vgpr4
                                        ; implicit-def: $vgpr0
.LBB4_984:                              ;   in Loop: Header=BB4_601 Depth=2
	s_andn2_saveexec_b64 s[78:79], s[78:79]
; %bb.985:                              ;   in Loop: Header=BB4_601 Depth=2
	v_cmp_gt_i16_sdwa vcc, sext(v0), v43 src0_sel:BYTE_0 src1_sel:DWORD
	v_cndmask_b32_e32 v0, v8, v54, vcc
	v_cmp_eq_u32_e32 vcc, 0, v4
	v_cndmask_b32_e32 v3, v55, v0, vcc
; %bb.986:                              ;   in Loop: Header=BB4_601 Depth=2
	s_or_b64 exec, exec, s[78:79]
.LBB4_987:                              ;   in Loop: Header=BB4_601 Depth=2
	s_or_b64 exec, exec, s[76:77]
.LBB4_988:                              ;   in Loop: Header=BB4_601 Depth=2
	s_or_b64 exec, exec, s[18:19]
	v_max_f32_e32 v0, v3, v3
	v_max_f32_e32 v2, v2, v2
	v_min_f32_e32 v4, v2, v0
.LBB4_989:                              ;   in Loop: Header=BB4_601 Depth=2
	s_or_b64 exec, exec, s[74:75]
	v_and_b32_e32 v17, 0x7f800000, v4
	v_mov_b32_e32 v18, v59
	v_cmp_ne_u64_e32 vcc, s[58:59], v[17:18]
	v_and_b32_e32 v2, 0x7fffff, v4
	v_mov_b32_e32 v3, v59
                                        ; implicit-def: $vgpr33
	s_and_saveexec_b64 s[18:19], vcc
	s_xor_b64 s[74:75], exec, s[18:19]
	s_cbranch_execz .LBB4_1003
; %bb.990:                              ;   in Loop: Header=BB4_601 Depth=2
	v_and_b32_e32 v17, 0x7fffffff, v4
	v_mov_b32_e32 v18, v59
	v_cmp_gt_u64_e32 vcc, s[60:61], v[17:18]
	v_and_b32_sdwa v0, v4, s50 dst_sel:DWORD dst_unused:UNUSED_PAD src0_sel:BYTE_3 src1_sel:DWORD
                                        ; implicit-def: $vgpr33
	s_and_saveexec_b64 s[18:19], vcc
	s_xor_b64 s[76:77], exec, s[18:19]
	s_cbranch_execz .LBB4_1000
; %bb.991:                              ;   in Loop: Header=BB4_601 Depth=2
	v_mov_b32_e32 v33, 0
	v_cmp_ne_u32_e32 vcc, 0, v4
	s_and_saveexec_b64 s[78:79], vcc
	s_cbranch_execz .LBB4_999
; %bb.992:                              ;   in Loop: Header=BB4_601 Depth=2
	v_bfe_u32 v17, v4, 23, 8
	v_cmp_gt_u32_e64 s[18:19], s51, v17
	v_sub_u32_e32 v4, 0x71, v17
	v_cmp_eq_u32_e32 vcc, 0, v17
	v_cndmask_b32_e64 v4, 0, v4, s[18:19]
	v_cndmask_b32_e32 v18, v4, v25, vcc
	v_or_b32_e32 v27, 0x800000, v2
	v_add_u32_e32 v4, 21, v18
	v_cndmask_b32_e32 v2, v27, v2, vcc
	v_lshlrev_b64 v[27:28], v4, -1
	v_add_u32_e32 v4, 20, v18
	v_bfi_b32 v27, v27, 0, v2
	v_lshlrev_b64 v[37:38], v4, 1
	v_lshrrev_b64 v[2:3], v18, v[2:3]
	v_bfi_b32 v28, v28, 0, 0
	v_cmp_eq_u64_e64 s[18:19], v[27:28], v[37:38]
	v_mov_b32_e32 v4, v3
	v_mov_b32_e32 v3, v2
	s_and_saveexec_b64 s[88:89], s[18:19]
; %bb.993:                              ;   in Loop: Header=BB4_601 Depth=2
	v_bfe_u32 v3, v2, 21, 1
	v_add_co_u32_e64 v3, s[18:19], v2, v3
	v_add_co_u32_e64 v3, s[18:19], -1, v3
; %bb.994:                              ;   in Loop: Header=BB4_601 Depth=2
	s_or_b64 exec, exec, s[88:89]
	v_add_u32_e32 v4, 0xffffff81, v17
	v_cndmask_b32_e32 v4, v4, v48, vcc
	v_lshrrev_b32_e32 v17, 23, v2
	v_add3_u32 v18, v18, v4, v17
	v_add_u32_e32 v17, 14, v18
	v_and_b32_e32 v3, 0x1fffff, v3
	v_add_u32_e32 v2, v3, v2
	v_mov_b32_e32 v3, v59
	v_cmp_ne_u32_e32 vcc, 0, v17
                                        ; implicit-def: $vgpr4
	s_and_saveexec_b64 s[18:19], vcc
	s_xor_b64 s[18:19], exec, s[18:19]
; %bb.995:                              ;   in Loop: Header=BB4_601 Depth=2
	v_cmp_lt_u64_e32 vcc, s[62:63], v[2:3]
	v_add_u32_e32 v4, 15, v18
	v_cndmask_b32_e32 v4, v17, v4, vcc
	v_cndmask_b32_e64 v17, 0, 1, vcc
	v_lshrrev_b64 v[2:3], v17, v[2:3]
; %bb.996:                              ;   in Loop: Header=BB4_601 Depth=2
	s_andn2_saveexec_b64 s[18:19], s[18:19]
; %bb.997:                              ;   in Loop: Header=BB4_601 Depth=2
	v_bfe_u32 v4, v2, 23, 1
; %bb.998:                              ;   in Loop: Header=BB4_601 Depth=2
	s_or_b64 exec, exec, s[18:19]
	v_lshrrev_b64 v[2:3], 21, v[2:3]
	v_cmp_gt_i32_e32 vcc, 32, v4
	v_cndmask_b32_e32 v3, 0, v3, vcc
	v_cndmask_b32_e32 v2, 3, v2, vcc
	v_cmp_eq_u64_e64 s[18:19], 0, v[2:3]
	v_min_i32_e32 v3, 31, v4
	v_lshlrev_b32_e32 v3, 2, v3
	v_cmp_eq_u32_e32 vcc, 0, v4
	v_and_b32_e32 v3, 0xfc, v3
	v_and_or_b32 v2, v2, 3, v3
	s_and_b64 s[18:19], vcc, s[18:19]
	v_cndmask_b32_e64 v2, v2, 0, s[18:19]
	v_or_b32_e32 v33, v2, v0
.LBB4_999:                              ;   in Loop: Header=BB4_601 Depth=2
	s_or_b64 exec, exec, s[78:79]
                                        ; implicit-def: $vgpr0
.LBB4_1000:                             ;   in Loop: Header=BB4_601 Depth=2
	s_andn2_saveexec_b64 s[18:19], s[76:77]
; %bb.1001:                             ;   in Loop: Header=BB4_601 Depth=2
	v_or_b32_e32 v33, 0x7b, v0
; %bb.1002:                             ;   in Loop: Header=BB4_601 Depth=2
	s_or_b64 exec, exec, s[18:19]
                                        ; implicit-def: $vgpr4
                                        ; implicit-def: $vgpr2_vgpr3
.LBB4_1003:                             ;   in Loop: Header=BB4_601 Depth=2
	s_andn2_saveexec_b64 s[18:19], s[74:75]
	s_cbranch_execz .LBB4_1009
; %bb.1004:                             ;   in Loop: Header=BB4_601 Depth=2
	v_cmp_ne_u64_e32 vcc, 0, v[2:3]
                                        ; implicit-def: $vgpr33
	s_and_saveexec_b64 s[74:75], vcc
	s_xor_b64 s[74:75], exec, s[74:75]
; %bb.1005:                             ;   in Loop: Header=BB4_601 Depth=2
	v_or_b32_sdwa v33, v4, s52 dst_sel:DWORD dst_unused:UNUSED_PAD src0_sel:BYTE_3 src1_sel:DWORD
                                        ; implicit-def: $vgpr4
; %bb.1006:                             ;   in Loop: Header=BB4_601 Depth=2
	s_andn2_saveexec_b64 s[74:75], s[74:75]
; %bb.1007:                             ;   in Loop: Header=BB4_601 Depth=2
	v_cmp_lt_i32_e32 vcc, -1, v4
	v_cndmask_b32_e32 v33, v49, v31, vcc
; %bb.1008:                             ;   in Loop: Header=BB4_601 Depth=2
	s_or_b64 exec, exec, s[74:75]
.LBB4_1009:                             ;   in Loop: Header=BB4_601 Depth=2
	s_or_b64 exec, exec, s[18:19]
	v_mov_b32_e32 v18, v59
	v_cmp_lt_u64_e32 vcc, s[56:57], v[18:19]
	v_lshrrev_b32_e32 v17, 24, v19
	v_lshrrev_b32_e32 v0, 24, v58
	v_mov_b32_e32 v27, v59
	v_mov_b32_e32 v28, v58
                                        ; implicit-def: $vgpr2
	s_and_saveexec_b64 s[18:19], s[14:15]
	s_xor_b64 s[74:75], exec, s[18:19]
	s_cbranch_execz .LBB4_1027
; %bb.1010:                             ;   in Loop: Header=BB4_601 Depth=2
	v_mov_b32_e32 v3, 0
	v_mov_b32_e32 v2, 0
	s_and_saveexec_b64 s[76:77], vcc
	s_cbranch_execz .LBB4_1018
; %bb.1011:                             ;   in Loop: Header=BB4_601 Depth=2
	v_cmp_ne_u32_e64 s[18:19], s50, v17
	v_bfrev_b32_e32 v2, 1
	s_and_saveexec_b64 s[78:79], s[18:19]
	s_cbranch_execz .LBB4_1017
; %bb.1012:                             ;   in Loop: Header=BB4_601 Depth=2
	v_and_b32_e32 v2, 0x7c000000, v19
	v_bfe_u32 v4, v19, 24, 2
	v_cmp_ne_u32_e64 s[18:19], s54, v2
                                        ; implicit-def: $vgpr2
	s_and_saveexec_b64 s[88:89], s[18:19]
	s_xor_b64 s[88:89], exec, s[88:89]
	s_cbranch_execz .LBB4_1014
; %bb.1013:                             ;   in Loop: Header=BB4_601 Depth=2
	v_ffbh_u32_e32 v18, v4
	v_min_u32_e32 v37, 32, v18
	v_subrev_u32_e32 v18, 29, v37
	v_lshlrev_b64 v[17:18], v18, v[17:18]
	v_bfe_u32 v2, v19, 26, 5
	v_sub_u32_e32 v18, 30, v37
	v_and_b32_e32 v17, 3, v17
	v_cmp_eq_u32_e64 s[18:19], 0, v2
	v_cndmask_b32_e64 v2, v2, v18, s[18:19]
	v_cndmask_b32_e64 v4, v4, v17, s[18:19]
	v_and_b32_e32 v17, 0x80000000, v19
	v_lshl_add_u32 v2, v2, 23, v17
	v_lshl_or_b32 v2, v4, 21, v2
	v_add_u32_e32 v2, 0x38000000, v2
                                        ; implicit-def: $vgpr4
                                        ; implicit-def: $vgpr18_vgpr19
.LBB4_1014:                             ;   in Loop: Header=BB4_601 Depth=2
	s_andn2_saveexec_b64 s[88:89], s[88:89]
; %bb.1015:                             ;   in Loop: Header=BB4_601 Depth=2
	v_cmp_lt_i64_e64 s[18:19], -1, v[18:19]
	v_cndmask_b32_e64 v2, v8, v54, s[18:19]
	v_cmp_eq_u32_e64 s[18:19], 0, v4
	v_cndmask_b32_e64 v2, v55, v2, s[18:19]
; %bb.1016:                             ;   in Loop: Header=BB4_601 Depth=2
	s_or_b64 exec, exec, s[88:89]
.LBB4_1017:                             ;   in Loop: Header=BB4_601 Depth=2
	s_or_b64 exec, exec, s[78:79]
.LBB4_1018:                             ;   in Loop: Header=BB4_601 Depth=2
	s_or_b64 exec, exec, s[76:77]
	v_cmp_lt_u32_e64 s[18:19], s57, v58
	s_and_saveexec_b64 s[76:77], s[18:19]
	s_cbranch_execz .LBB4_1026
; %bb.1019:                             ;   in Loop: Header=BB4_601 Depth=2
	v_cmp_ne_u32_e64 s[18:19], s50, v0
	v_bfrev_b32_e32 v3, 1
	s_and_saveexec_b64 s[78:79], s[18:19]
	s_cbranch_execz .LBB4_1025
; %bb.1020:                             ;   in Loop: Header=BB4_601 Depth=2
	v_and_b32_e32 v3, 0x7c000000, v58
	v_bfe_u32 v4, v58, 24, 2
	v_cmp_ne_u32_e64 s[18:19], s54, v3
                                        ; implicit-def: $vgpr3
	s_and_saveexec_b64 s[88:89], s[18:19]
	s_xor_b64 s[88:89], exec, s[88:89]
	s_cbranch_execz .LBB4_1022
; %bb.1021:                             ;   in Loop: Header=BB4_601 Depth=2
	v_ffbh_u32_e32 v17, v4
	v_min_u32_e32 v19, 32, v17
	v_subrev_u32_e32 v17, 29, v19
	v_lshlrev_b64 v[17:18], v17, v[0:1]
	v_bfe_u32 v3, v58, 26, 5
	v_sub_u32_e32 v0, 30, v19
	v_and_b32_e32 v17, 3, v17
	v_cmp_eq_u32_e64 s[18:19], 0, v3
	v_cndmask_b32_e64 v0, v3, v0, s[18:19]
	v_cndmask_b32_e64 v3, v4, v17, s[18:19]
	v_and_b32_e32 v4, 0x80000000, v58
	v_lshl_add_u32 v0, v0, 23, v4
	v_lshl_or_b32 v0, v3, 21, v0
	v_add_u32_e32 v3, 0x38000000, v0
                                        ; implicit-def: $vgpr4
                                        ; implicit-def: $vgpr27_vgpr28
.LBB4_1022:                             ;   in Loop: Header=BB4_601 Depth=2
	s_andn2_saveexec_b64 s[88:89], s[88:89]
; %bb.1023:                             ;   in Loop: Header=BB4_601 Depth=2
	v_cmp_lt_i64_e64 s[18:19], -1, v[27:28]
	v_cndmask_b32_e64 v0, v8, v54, s[18:19]
	v_cmp_eq_u32_e64 s[18:19], 0, v4
	v_cndmask_b32_e64 v3, v55, v0, s[18:19]
; %bb.1024:                             ;   in Loop: Header=BB4_601 Depth=2
	s_or_b64 exec, exec, s[88:89]
.LBB4_1025:                             ;   in Loop: Header=BB4_601 Depth=2
	s_or_b64 exec, exec, s[78:79]
.LBB4_1026:                             ;   in Loop: Header=BB4_601 Depth=2
	s_or_b64 exec, exec, s[76:77]
	v_max_f32_e32 v0, v3, v3
	v_max_f32_e32 v2, v2, v2
	;; [unrolled: 1-line block ×3, first 2 shown]
                                        ; implicit-def: $vgpr0
                                        ; implicit-def: $vgpr17
                                        ; implicit-def: $vgpr27_vgpr28
                                        ; implicit-def: $vgpr18_vgpr19
.LBB4_1027:                             ;   in Loop: Header=BB4_601 Depth=2
	s_andn2_saveexec_b64 s[18:19], s[74:75]
	s_cbranch_execz .LBB4_1045
; %bb.1028:                             ;   in Loop: Header=BB4_601 Depth=2
	v_mov_b32_e32 v3, 0
	v_mov_b32_e32 v2, 0
	s_and_saveexec_b64 s[74:75], vcc
	s_cbranch_execz .LBB4_1036
; %bb.1029:                             ;   in Loop: Header=BB4_601 Depth=2
	v_cmp_ne_u32_e32 vcc, s50, v17
	v_bfrev_b32_e32 v2, 1
	s_and_saveexec_b64 s[76:77], vcc
	s_cbranch_execz .LBB4_1035
; %bb.1030:                             ;   in Loop: Header=BB4_601 Depth=2
	v_and_b32_e32 v2, 0x7c000000, v19
	v_bfe_u32 v4, v19, 24, 2
	v_cmp_ne_u32_e32 vcc, s54, v2
                                        ; implicit-def: $vgpr2
	s_and_saveexec_b64 s[78:79], vcc
	s_xor_b64 s[78:79], exec, s[78:79]
	s_cbranch_execz .LBB4_1032
; %bb.1031:                             ;   in Loop: Header=BB4_601 Depth=2
	v_ffbh_u32_e32 v18, v4
	v_min_u32_e32 v37, 32, v18
	v_subrev_u32_e32 v18, 29, v37
	v_lshlrev_b64 v[17:18], v18, v[17:18]
	v_bfe_u32 v2, v19, 26, 5
	v_sub_u32_e32 v18, 30, v37
	v_and_b32_e32 v17, 3, v17
	v_cmp_eq_u32_e32 vcc, 0, v2
	v_cndmask_b32_e32 v2, v2, v18, vcc
	v_cndmask_b32_e32 v4, v4, v17, vcc
	v_and_b32_e32 v17, 0x80000000, v19
	v_lshl_add_u32 v2, v2, 23, v17
	v_lshl_or_b32 v2, v4, 21, v2
	v_add_u32_e32 v2, 0x38000000, v2
                                        ; implicit-def: $vgpr4
                                        ; implicit-def: $vgpr18_vgpr19
.LBB4_1032:                             ;   in Loop: Header=BB4_601 Depth=2
	s_andn2_saveexec_b64 s[78:79], s[78:79]
; %bb.1033:                             ;   in Loop: Header=BB4_601 Depth=2
	v_cmp_lt_i64_e32 vcc, -1, v[18:19]
	v_cndmask_b32_e32 v2, v8, v54, vcc
	v_cmp_eq_u32_e32 vcc, 0, v4
	v_cndmask_b32_e32 v2, v55, v2, vcc
; %bb.1034:                             ;   in Loop: Header=BB4_601 Depth=2
	s_or_b64 exec, exec, s[78:79]
.LBB4_1035:                             ;   in Loop: Header=BB4_601 Depth=2
	s_or_b64 exec, exec, s[76:77]
.LBB4_1036:                             ;   in Loop: Header=BB4_601 Depth=2
	s_or_b64 exec, exec, s[74:75]
	v_cmp_lt_u32_e32 vcc, s57, v58
	s_and_saveexec_b64 s[74:75], vcc
	s_cbranch_execz .LBB4_1044
; %bb.1037:                             ;   in Loop: Header=BB4_601 Depth=2
	v_cmp_ne_u32_e32 vcc, s50, v0
	v_bfrev_b32_e32 v3, 1
	s_and_saveexec_b64 s[76:77], vcc
	s_cbranch_execz .LBB4_1043
; %bb.1038:                             ;   in Loop: Header=BB4_601 Depth=2
	v_and_b32_e32 v3, 0x7c000000, v58
	v_bfe_u32 v4, v58, 24, 2
	v_cmp_ne_u32_e32 vcc, s54, v3
                                        ; implicit-def: $vgpr3
	s_and_saveexec_b64 s[78:79], vcc
	s_xor_b64 s[78:79], exec, s[78:79]
	s_cbranch_execz .LBB4_1040
; %bb.1039:                             ;   in Loop: Header=BB4_601 Depth=2
	v_ffbh_u32_e32 v17, v4
	v_min_u32_e32 v19, 32, v17
	v_subrev_u32_e32 v17, 29, v19
	v_lshlrev_b64 v[17:18], v17, v[0:1]
	v_bfe_u32 v3, v58, 26, 5
	v_sub_u32_e32 v0, 30, v19
	v_and_b32_e32 v17, 3, v17
	v_cmp_eq_u32_e32 vcc, 0, v3
	v_cndmask_b32_e32 v0, v3, v0, vcc
	v_cndmask_b32_e32 v3, v4, v17, vcc
	v_and_b32_e32 v4, 0x80000000, v58
	v_lshl_add_u32 v0, v0, 23, v4
	v_lshl_or_b32 v0, v3, 21, v0
	v_add_u32_e32 v3, 0x38000000, v0
                                        ; implicit-def: $vgpr4
                                        ; implicit-def: $vgpr27_vgpr28
.LBB4_1040:                             ;   in Loop: Header=BB4_601 Depth=2
	s_andn2_saveexec_b64 s[78:79], s[78:79]
; %bb.1041:                             ;   in Loop: Header=BB4_601 Depth=2
	v_cmp_lt_i64_e32 vcc, -1, v[27:28]
	v_cndmask_b32_e32 v0, v8, v54, vcc
	v_cmp_eq_u32_e32 vcc, 0, v4
	v_cndmask_b32_e32 v3, v55, v0, vcc
; %bb.1042:                             ;   in Loop: Header=BB4_601 Depth=2
	s_or_b64 exec, exec, s[78:79]
.LBB4_1043:                             ;   in Loop: Header=BB4_601 Depth=2
	s_or_b64 exec, exec, s[76:77]
.LBB4_1044:                             ;   in Loop: Header=BB4_601 Depth=2
	s_or_b64 exec, exec, s[74:75]
	v_max_f32_e32 v0, v3, v3
	v_max_f32_e32 v2, v2, v2
	v_min_f32_e32 v2, v2, v0
.LBB4_1045:                             ;   in Loop: Header=BB4_601 Depth=2
	s_or_b64 exec, exec, s[18:19]
	v_and_b32_e32 v3, 0x7f800000, v2
	v_mov_b32_e32 v4, v59
	v_cmp_ne_u64_e32 vcc, s[58:59], v[3:4]
	v_and_b32_e32 v58, 0x7fffff, v2
                                        ; implicit-def: $vgpr3
	s_and_saveexec_b64 s[18:19], vcc
	s_xor_b64 s[74:75], exec, s[18:19]
	s_cbranch_execz .LBB4_1059
; %bb.1046:                             ;   in Loop: Header=BB4_601 Depth=2
	v_and_b32_e32 v3, 0x7fffffff, v2
	v_mov_b32_e32 v4, v59
	v_cmp_gt_u64_e32 vcc, s[60:61], v[3:4]
	v_and_b32_sdwa v0, v2, s50 dst_sel:DWORD dst_unused:UNUSED_PAD src0_sel:BYTE_3 src1_sel:DWORD
                                        ; implicit-def: $vgpr3
	s_and_saveexec_b64 s[18:19], vcc
	s_xor_b64 s[76:77], exec, s[18:19]
	s_cbranch_execz .LBB4_1056
; %bb.1047:                             ;   in Loop: Header=BB4_601 Depth=2
	v_mov_b32_e32 v3, 0
	v_cmp_ne_u32_e32 vcc, 0, v2
	s_and_saveexec_b64 s[78:79], vcc
	s_cbranch_execz .LBB4_1055
; %bb.1048:                             ;   in Loop: Header=BB4_601 Depth=2
	v_bfe_u32 v17, v2, 23, 8
	v_cmp_gt_u32_e64 s[18:19], s51, v17
	v_sub_u32_e32 v2, 0x71, v17
	v_cmp_eq_u32_e32 vcc, 0, v17
	v_cndmask_b32_e64 v2, 0, v2, s[18:19]
	v_cndmask_b32_e32 v18, v2, v25, vcc
	v_or_b32_e32 v3, 0x800000, v58
	v_add_u32_e32 v2, 21, v18
	v_cndmask_b32_e32 v58, v3, v58, vcc
	v_lshlrev_b64 v[2:3], v2, -1
	v_add_u32_e32 v4, 20, v18
	v_lshlrev_b64 v[27:28], v4, 1
	v_bfi_b32 v3, v3, 0, 0
	v_bfi_b32 v2, v2, 0, v58
	v_cmp_eq_u64_e64 s[18:19], v[2:3], v[27:28]
	v_lshrrev_b64 v[2:3], v18, v[58:59]
	v_mov_b32_e32 v4, v3
	v_mov_b32_e32 v3, v2
	s_and_saveexec_b64 s[88:89], s[18:19]
; %bb.1049:                             ;   in Loop: Header=BB4_601 Depth=2
	v_bfe_u32 v3, v2, 21, 1
	v_add_co_u32_e64 v3, s[18:19], v2, v3
	v_add_co_u32_e64 v3, s[18:19], -1, v3
; %bb.1050:                             ;   in Loop: Header=BB4_601 Depth=2
	s_or_b64 exec, exec, s[88:89]
	v_add_u32_e32 v4, 0xffffff81, v17
	v_cndmask_b32_e32 v4, v4, v48, vcc
	v_lshrrev_b32_e32 v17, 23, v2
	v_add3_u32 v18, v18, v4, v17
	v_add_u32_e32 v17, 14, v18
	v_and_b32_e32 v3, 0x1fffff, v3
	v_add_u32_e32 v58, v3, v2
	v_cmp_ne_u32_e32 vcc, 0, v17
                                        ; implicit-def: $vgpr2_vgpr3
                                        ; implicit-def: $vgpr4
	s_and_saveexec_b64 s[18:19], vcc
	s_xor_b64 s[18:19], exec, s[18:19]
; %bb.1051:                             ;   in Loop: Header=BB4_601 Depth=2
	v_cmp_lt_u64_e32 vcc, s[62:63], v[58:59]
	v_add_u32_e32 v2, 15, v18
	v_cndmask_b32_e32 v4, v17, v2, vcc
	v_cndmask_b32_e64 v2, 0, 1, vcc
	v_lshrrev_b64 v[2:3], v2, v[58:59]
; %bb.1052:                             ;   in Loop: Header=BB4_601 Depth=2
	s_andn2_saveexec_b64 s[18:19], s[18:19]
; %bb.1053:                             ;   in Loop: Header=BB4_601 Depth=2
	v_mov_b32_e32 v2, v58
	v_bfe_u32 v4, v58, 23, 1
	v_mov_b32_e32 v3, v59
; %bb.1054:                             ;   in Loop: Header=BB4_601 Depth=2
	s_or_b64 exec, exec, s[18:19]
	v_lshrrev_b64 v[2:3], 21, v[2:3]
	v_cmp_gt_i32_e32 vcc, 32, v4
	v_cndmask_b32_e32 v3, 0, v3, vcc
	v_cndmask_b32_e32 v2, 3, v2, vcc
	v_cmp_eq_u64_e64 s[18:19], 0, v[2:3]
	v_min_i32_e32 v3, 31, v4
	v_lshlrev_b32_e32 v3, 2, v3
	v_cmp_eq_u32_e32 vcc, 0, v4
	v_and_b32_e32 v3, 0xfc, v3
	v_and_or_b32 v2, v2, 3, v3
	s_and_b64 s[18:19], vcc, s[18:19]
	v_cndmask_b32_e64 v2, v2, 0, s[18:19]
	v_or_b32_e32 v3, v2, v0
.LBB4_1055:                             ;   in Loop: Header=BB4_601 Depth=2
	s_or_b64 exec, exec, s[78:79]
                                        ; implicit-def: $vgpr0
.LBB4_1056:                             ;   in Loop: Header=BB4_601 Depth=2
	s_andn2_saveexec_b64 s[18:19], s[76:77]
; %bb.1057:                             ;   in Loop: Header=BB4_601 Depth=2
	v_or_b32_e32 v3, 0x7b, v0
; %bb.1058:                             ;   in Loop: Header=BB4_601 Depth=2
	s_or_b64 exec, exec, s[18:19]
                                        ; implicit-def: $vgpr2
.LBB4_1059:                             ;   in Loop: Header=BB4_601 Depth=2
	s_andn2_saveexec_b64 s[18:19], s[74:75]
	s_cbranch_execz .LBB4_1065
; %bb.1060:                             ;   in Loop: Header=BB4_601 Depth=2
	v_cmp_ne_u64_e32 vcc, 0, v[58:59]
                                        ; implicit-def: $vgpr3
	s_and_saveexec_b64 s[74:75], vcc
	s_xor_b64 s[74:75], exec, s[74:75]
; %bb.1061:                             ;   in Loop: Header=BB4_601 Depth=2
	v_or_b32_sdwa v3, v2, s52 dst_sel:DWORD dst_unused:UNUSED_PAD src0_sel:BYTE_3 src1_sel:DWORD
                                        ; implicit-def: $vgpr2
; %bb.1062:                             ;   in Loop: Header=BB4_601 Depth=2
	s_andn2_saveexec_b64 s[74:75], s[74:75]
; %bb.1063:                             ;   in Loop: Header=BB4_601 Depth=2
	v_cmp_lt_i32_e32 vcc, -1, v2
	v_cndmask_b32_e32 v3, v49, v31, vcc
; %bb.1064:                             ;   in Loop: Header=BB4_601 Depth=2
	s_or_b64 exec, exec, s[74:75]
.LBB4_1065:                             ;   in Loop: Header=BB4_601 Depth=2
	s_or_b64 exec, exec, s[18:19]
	v_lshlrev_b32_e32 v0, 16, v23
	v_lshlrev_b32_e32 v2, 24, v36
	v_lshl_or_b32 v0, v32, 8, v0
	v_or3_b32 v17, v0, v2, v10
	v_lshlrev_b32_e32 v2, 16, v33
	v_lshlrev_b32_e32 v0, 24, v3
	v_lshl_or_b32 v2, v24, 8, v2
	v_cmp_lt_u32_e32 vcc, 7, v42
	v_or3_b32 v18, v2, v0, v20
	s_cmp_lg_u64 vcc, exec
	s_mov_b64 s[18:19], -1
	s_cbranch_scc0 .LBB4_1075
; %bb.1066:                             ;   in Loop: Header=BB4_601 Depth=2
	v_cmp_ne_u32_e64 s[18:19], 1, v42
	flat_store_byte v[46:47], v10
	s_and_saveexec_b64 s[74:75], s[18:19]
	s_cbranch_execnz .LBB4_1077
; %bb.1067:                             ;   in Loop: Header=BB4_601 Depth=2
	s_or_b64 exec, exec, s[74:75]
	v_cmp_lt_u32_e64 s[18:19], 2, v42
	s_and_saveexec_b64 s[74:75], s[18:19]
	s_cbranch_execnz .LBB4_1078
.LBB4_1068:                             ;   in Loop: Header=BB4_601 Depth=2
	s_or_b64 exec, exec, s[74:75]
	v_cmp_lt_u32_e64 s[18:19], 3, v42
	s_and_saveexec_b64 s[74:75], s[18:19]
	s_cbranch_execnz .LBB4_1079
.LBB4_1069:                             ;   in Loop: Header=BB4_601 Depth=2
	s_or_b64 exec, exec, s[74:75]
	v_cmp_lt_u32_e64 s[18:19], 4, v42
	s_and_saveexec_b64 s[74:75], s[18:19]
	s_cbranch_execnz .LBB4_1080
.LBB4_1070:                             ;   in Loop: Header=BB4_601 Depth=2
	s_or_b64 exec, exec, s[74:75]
	v_cmp_lt_u32_e64 s[18:19], 5, v42
	s_and_saveexec_b64 s[74:75], s[18:19]
	s_cbranch_execnz .LBB4_1081
.LBB4_1071:                             ;   in Loop: Header=BB4_601 Depth=2
	s_or_b64 exec, exec, s[74:75]
	v_cmp_lt_u32_e64 s[18:19], 6, v42
	s_and_saveexec_b64 s[74:75], s[18:19]
	s_cbranch_execnz .LBB4_1082
.LBB4_1072:                             ;   in Loop: Header=BB4_601 Depth=2
	s_or_b64 exec, exec, s[74:75]
	s_and_saveexec_b64 s[18:19], vcc
	s_cbranch_execz .LBB4_1074
.LBB4_1073:                             ;   in Loop: Header=BB4_601 Depth=2
	v_lshrrev_b32_e32 v0, 24, v18
	flat_store_byte v[46:47], v0 offset:7
.LBB4_1074:                             ;   in Loop: Header=BB4_601 Depth=2
	s_or_b64 exec, exec, s[18:19]
	s_mov_b64 s[18:19], 0
.LBB4_1075:                             ;   in Loop: Header=BB4_601 Depth=2
	s_and_b64 vcc, exec, s[18:19]
	s_cbranch_vccz .LBB4_600
; %bb.1076:                             ;   in Loop: Header=BB4_601 Depth=2
	global_store_dwordx2 v[46:47], v[17:18], off
	s_branch .LBB4_600
.LBB4_1077:                             ;   in Loop: Header=BB4_601 Depth=2
	v_lshrrev_b32_e32 v0, 8, v17
	flat_store_byte v[46:47], v0 offset:1
	s_or_b64 exec, exec, s[74:75]
	v_cmp_lt_u32_e64 s[18:19], 2, v42
	s_and_saveexec_b64 s[74:75], s[18:19]
	s_cbranch_execz .LBB4_1068
.LBB4_1078:                             ;   in Loop: Header=BB4_601 Depth=2
	flat_store_byte_d16_hi v[46:47], v17 offset:2
	s_or_b64 exec, exec, s[74:75]
	v_cmp_lt_u32_e64 s[18:19], 3, v42
	s_and_saveexec_b64 s[74:75], s[18:19]
	s_cbranch_execz .LBB4_1069
.LBB4_1079:                             ;   in Loop: Header=BB4_601 Depth=2
	v_lshrrev_b32_e32 v0, 24, v17
	flat_store_byte v[46:47], v0 offset:3
	s_or_b64 exec, exec, s[74:75]
	v_cmp_lt_u32_e64 s[18:19], 4, v42
	s_and_saveexec_b64 s[74:75], s[18:19]
	s_cbranch_execz .LBB4_1070
.LBB4_1080:                             ;   in Loop: Header=BB4_601 Depth=2
	flat_store_byte v[46:47], v20 offset:4
	s_or_b64 exec, exec, s[74:75]
	v_cmp_lt_u32_e64 s[18:19], 5, v42
	s_and_saveexec_b64 s[74:75], s[18:19]
	s_cbranch_execz .LBB4_1071
.LBB4_1081:                             ;   in Loop: Header=BB4_601 Depth=2
	v_lshrrev_b32_e32 v0, 8, v18
	flat_store_byte v[46:47], v0 offset:5
	s_or_b64 exec, exec, s[74:75]
	v_cmp_lt_u32_e64 s[18:19], 6, v42
	s_and_saveexec_b64 s[74:75], s[18:19]
	s_cbranch_execz .LBB4_1072
.LBB4_1082:                             ;   in Loop: Header=BB4_601 Depth=2
	flat_store_byte_d16_hi v[46:47], v18 offset:6
	s_or_b64 exec, exec, s[74:75]
	s_and_saveexec_b64 s[18:19], vcc
	s_cbranch_execnz .LBB4_1073
	s_branch .LBB4_1074
.LBB4_1083:                             ;   in Loop: Header=BB4_21 Depth=1
	s_or_b64 exec, exec, s[72:73]
.LBB4_1084:                             ;   in Loop: Header=BB4_21 Depth=1
	s_or_b64 exec, exec, s[20:21]
	buffer_load_dword v36, off, s[0:3], s32 offset:164 ; 4-byte Folded Reload
	buffer_load_dword v37, off, s[0:3], s32 offset:168 ; 4-byte Folded Reload
	;; [unrolled: 1-line block ×11, first 2 shown]
	s_and_saveexec_b64 s[18:19], s[10:11]
	s_cbranch_execz .LBB4_1103
; %bb.1085:                             ;   in Loop: Header=BB4_21 Depth=1
	s_and_saveexec_b64 s[20:21], s[42:43]
	s_xor_b64 s[20:21], exec, s[20:21]
	s_cbranch_execz .LBB4_1100
; %bb.1086:                             ;   in Loop: Header=BB4_21 Depth=1
	s_and_saveexec_b64 s[72:73], s[12:13]
	s_cbranch_execz .LBB4_1099
; %bb.1087:                             ;   in Loop: Header=BB4_21 Depth=1
	s_mov_b64 s[76:77], exec
	s_waitcnt lgkmcnt(0)
	v_mbcnt_lo_u32_b32 v0, s76, 0
	v_mbcnt_hi_u32_b32 v0, s77, v0
	v_cmp_eq_u32_e32 vcc, 0, v0
	s_waitcnt vmcnt(0)
	buffer_wbinvl1_vol
	s_and_saveexec_b64 s[74:75], vcc
	s_cbranch_execz .LBB4_1089
; %bb.1088:                             ;   in Loop: Header=BB4_21 Depth=1
	s_bcnt1_i32_b64 s28, s[76:77]
	v_mov_b32_e32 v58, s28
	ds_add_u64 v0, v[58:59]
	s_trap 2
.LBB4_1089:                             ;   in Loop: Header=BB4_21 Depth=1
	s_or_b64 exec, exec, s[74:75]
	s_trap 2
	ds_read_b64 v[2:3], v0
	s_waitcnt lgkmcnt(0)
	buffer_load_dword v0, off, s[0:3], s32 offset:128 ; 4-byte Folded Reload
	s_waitcnt vmcnt(0)
	v_add_co_u32_e32 v40, vcc, v40, v0
	v_addc_co_u32_e32 v41, vcc, 0, v41, vcc
	v_cmp_lt_u64_e32 vcc, v[2:3], v[40:41]
	s_and_saveexec_b64 s[74:75], vcc
	s_cbranch_execz .LBB4_1098
; %bb.1090:                             ;   in Loop: Header=BB4_21 Depth=1
	s_mov_b32 s28, 0
	s_mov_b64 s[76:77], 0
                                        ; implicit-def: $sgpr78_sgpr79
                                        ; implicit-def: $sgpr88_sgpr89
	s_branch .LBB4_1092
.LBB4_1091:                             ;   in Loop: Header=BB4_1092 Depth=2
	s_or_b64 exec, exec, s[92:93]
	s_and_b64 s[90:91], exec, s[94:95]
	s_or_b64 s[76:77], s[90:91], s[76:77]
	s_andn2_b64 s[78:79], s[78:79], exec
	s_and_b64 s[90:91], s[88:89], exec
	s_or_b64 s[78:79], s[78:79], s[90:91]
	s_andn2_b64 exec, exec, s[76:77]
	s_cbranch_execz .LBB4_1096
.LBB4_1092:                             ;   Parent Loop BB4_21 Depth=1
                                        ; =>  This Inner Loop Header: Depth=2
	s_add_i32 s28, s28, 1
	s_cmpk_lg_i32 s28, 0x2710
	s_cselect_b64 s[90:91], -1, 0
	s_and_b64 vcc, exec, s[90:91]
	s_cbranch_vccz .LBB4_1094
; %bb.1093:                             ;   in Loop: Header=BB4_1092 Depth=2
	s_mov_b64 s[94:95], -1
	s_or_b64 s[88:89], s[88:89], exec
	s_and_saveexec_b64 s[92:93], s[90:91]
	s_cbranch_execz .LBB4_1091
	s_branch .LBB4_1095
.LBB4_1094:                             ;   in Loop: Header=BB4_1092 Depth=2
	s_trap 2
	ds_read_b64 v[2:3], v0
	s_andn2_b64 s[90:91], s[90:91], exec
	s_mov_b32 s28, 0
	s_waitcnt lgkmcnt(0)
	flat_load_dword v0, v[2:3] glc
	s_waitcnt vmcnt(0) lgkmcnt(0)
	buffer_wbinvl1_vol
	v_cmp_eq_u32_e32 vcc, 0, v0
	s_and_b64 s[92:93], vcc, exec
	s_or_b64 s[90:91], s[90:91], s[92:93]
	s_mov_b64 s[94:95], -1
	s_or_b64 s[88:89], s[88:89], exec
	s_and_saveexec_b64 s[92:93], s[90:91]
	s_cbranch_execz .LBB4_1091
.LBB4_1095:                             ;   in Loop: Header=BB4_1092 Depth=2
	s_sleep 1
	s_trap 2
	ds_read_b64 v[2:3], v0
	s_waitcnt lgkmcnt(0)
	s_andn2_b64 s[88:89], s[88:89], exec
	v_cmp_ge_u64_e32 vcc, v[2:3], v[40:41]
	s_orn2_b64 s[94:95], vcc, exec
	s_branch .LBB4_1091
.LBB4_1096:                             ;   in Loop: Header=BB4_21 Depth=1
	s_or_b64 exec, exec, s[76:77]
	s_and_saveexec_b64 s[76:77], s[78:79]
	s_xor_b64 s[76:77], exec, s[76:77]
	s_cbranch_execz .LBB4_1098
; %bb.1097:                             ;   in Loop: Header=BB4_21 Depth=1
	v_mov_b32_e32 v0, 1
	ds_write_b32 v0, v0
	s_trap 2
.LBB4_1098:                             ;   in Loop: Header=BB4_21 Depth=1
	s_or_b64 exec, exec, s[74:75]
	;;#ASMSTART
	s_wakeup
	;;#ASMEND
.LBB4_1099:                             ;   in Loop: Header=BB4_21 Depth=1
	s_or_b64 exec, exec, s[72:73]
.LBB4_1100:                             ;   in Loop: Header=BB4_21 Depth=1
	s_andn2_saveexec_b64 s[20:21], s[20:21]
	s_cbranch_execz .LBB4_1102
; %bb.1101:                             ;   in Loop: Header=BB4_21 Depth=1
	s_waitcnt vmcnt(0) lgkmcnt(0)
	buffer_wbinvl1_vol
	s_barrier
.LBB4_1102:                             ;   in Loop: Header=BB4_21 Depth=1
	s_or_b64 exec, exec, s[20:21]
.LBB4_1103:                             ;   in Loop: Header=BB4_21 Depth=1
	s_or_b64 exec, exec, s[18:19]
	s_and_saveexec_b64 s[18:19], s[16:17]
	s_cbranch_execz .LBB4_20
; %bb.1104:                             ;   in Loop: Header=BB4_21 Depth=1
	buffer_load_dword v2, off, s[0:3], s32 offset:92 ; 4-byte Folded Reload
	buffer_load_dword v3, off, s[0:3], s32 offset:96 ; 4-byte Folded Reload
	v_add_co_u32_e32 v60, vcc, 1, v60
	v_addc_co_u32_e32 v61, vcc, 0, v61, vcc
	s_waitcnt vmcnt(0)
	flat_store_dwordx2 v[2:3], v[60:61]
	s_branch .LBB4_20
.LBB4_1105:
	s_or_b64 exec, exec, s[40:41]
	buffer_load_dword v31, off, s[0:3], s32 offset:244 ; 4-byte Folded Reload
	buffer_load_dword v12, off, s[0:3], s32 offset:248 ; 4-byte Folded Reload
	;; [unrolled: 1-line block ×6, first 2 shown]
.LBB4_1106:
	s_or_b64 exec, exec, s[26:27]
; %bb.1107:
	s_and_saveexec_b64 s[6:7], s[24:25]
	s_cbranch_execnz .LBB4_1110
; %bb.1108:
	s_or_b64 exec, exec, s[6:7]
	s_and_saveexec_b64 s[6:7], s[4:5]
	s_cbranch_execnz .LBB4_1111
.LBB4_1109:
	s_or_b64 exec, exec, s[6:7]
	v_cmp_ne_u32_e32 vcc, 64, v1
	s_and_saveexec_b64 s[4:5], vcc
	s_cbranch_execnz .LBB4_1112
	s_branch .LBB4_1129
.LBB4_1110:
	s_waitcnt vmcnt(0) lgkmcnt(0)
	flat_store_dwordx2 v[25:26], v[60:61] offset:104
	s_or_b64 exec, exec, s[6:7]
	s_and_saveexec_b64 s[6:7], s[4:5]
	s_cbranch_execz .LBB4_1109
.LBB4_1111:
	s_waitcnt vmcnt(0) lgkmcnt(0)
	flat_store_dwordx2 v[23:24], v[15:16] offset:104
	s_or_b64 exec, exec, s[6:7]
	v_cmp_ne_u32_e32 vcc, 64, v1
	s_and_saveexec_b64 s[4:5], vcc
	s_cbranch_execz .LBB4_1129
.LBB4_1112:
	s_waitcnt vmcnt(0)
	v_cmp_ne_u32_sdwa s[6:7], v1, v12 src0_sel:DWORD src1_sel:WORD_0
	s_and_saveexec_b64 s[8:9], s[6:7]
	s_xor_b64 s[6:7], exec, s[8:9]
	s_cbranch_execz .LBB4_1127
; %bb.1113:
	s_waitcnt lgkmcnt(0)
	v_and_b32_e32 v0, 63, v31
	v_cmp_eq_u32_e32 vcc, 0, v0
	s_and_saveexec_b64 s[8:9], vcc
	s_cbranch_execz .LBB4_1126
; %bb.1114:
	s_mov_b64 s[12:13], exec
	v_mbcnt_lo_u32_b32 v0, s12, 0
	v_mbcnt_hi_u32_b32 v0, s13, v0
	v_cmp_eq_u32_e32 vcc, 0, v0
	buffer_wbinvl1_vol
	s_and_saveexec_b64 s[10:11], vcc
	s_cbranch_execz .LBB4_1116
; %bb.1115:
	s_bcnt1_i32_b64 s12, s[12:13]
	v_mov_b32_e32 v2, s12
	v_mov_b32_e32 v3, 0
	ds_add_u64 v0, v[2:3]
	s_trap 2
.LBB4_1116:
	s_or_b64 exec, exec, s[10:11]
	v_lshrrev_b32_e32 v0, 6, v1
	s_trap 2
	ds_read_b64 v[2:3], v0
	s_waitcnt lgkmcnt(0)
	v_add_co_u32_e32 v0, vcc, v40, v0
	v_addc_co_u32_e32 v1, vcc, 0, v41, vcc
	v_cmp_lt_u64_e32 vcc, v[2:3], v[0:1]
	s_and_saveexec_b64 s[10:11], vcc
	s_cbranch_execz .LBB4_1125
; %bb.1117:
	s_mov_b32 s24, 0
	s_mov_b64 s[12:13], 0
                                        ; implicit-def: $sgpr14_sgpr15
                                        ; implicit-def: $sgpr16_sgpr17
	s_branch .LBB4_1119
.LBB4_1118:                             ;   in Loop: Header=BB4_1119 Depth=1
	s_or_b64 exec, exec, s[20:21]
	s_and_b64 s[18:19], exec, s[22:23]
	s_or_b64 s[12:13], s[18:19], s[12:13]
	s_andn2_b64 s[14:15], s[14:15], exec
	s_and_b64 s[18:19], s[16:17], exec
	s_or_b64 s[14:15], s[14:15], s[18:19]
	s_andn2_b64 exec, exec, s[12:13]
	s_cbranch_execz .LBB4_1123
.LBB4_1119:                             ; =>This Inner Loop Header: Depth=1
	s_add_i32 s24, s24, 1
	s_cmpk_lg_i32 s24, 0x2710
	s_cselect_b64 s[18:19], -1, 0
	s_and_b64 vcc, exec, s[18:19]
	s_cbranch_vccz .LBB4_1121
; %bb.1120:                             ;   in Loop: Header=BB4_1119 Depth=1
	s_mov_b64 s[22:23], -1
	s_or_b64 s[16:17], s[16:17], exec
	s_and_saveexec_b64 s[20:21], s[18:19]
	s_cbranch_execz .LBB4_1118
	s_branch .LBB4_1122
.LBB4_1121:                             ;   in Loop: Header=BB4_1119 Depth=1
	s_trap 2
	ds_read_b64 v[2:3], v0
	s_andn2_b64 s[18:19], s[18:19], exec
	s_mov_b32 s24, 0
	s_waitcnt lgkmcnt(0)
	flat_load_dword v2, v[2:3] glc
	s_waitcnt vmcnt(0) lgkmcnt(0)
	buffer_wbinvl1_vol
	v_cmp_eq_u32_e32 vcc, 0, v2
	s_and_b64 s[20:21], vcc, exec
	s_or_b64 s[18:19], s[18:19], s[20:21]
	s_mov_b64 s[22:23], -1
	s_or_b64 s[16:17], s[16:17], exec
	s_and_saveexec_b64 s[20:21], s[18:19]
	s_cbranch_execz .LBB4_1118
.LBB4_1122:                             ;   in Loop: Header=BB4_1119 Depth=1
	s_sleep 1
	s_trap 2
	ds_read_b64 v[2:3], v0
	s_waitcnt lgkmcnt(0)
	s_andn2_b64 s[16:17], s[16:17], exec
	v_cmp_ge_u64_e32 vcc, v[2:3], v[0:1]
	s_orn2_b64 s[22:23], vcc, exec
	s_branch .LBB4_1118
.LBB4_1123:
	s_or_b64 exec, exec, s[12:13]
	s_and_saveexec_b64 s[12:13], s[14:15]
	s_xor_b64 s[12:13], exec, s[12:13]
	s_cbranch_execz .LBB4_1125
; %bb.1124:
	v_mov_b32_e32 v0, 1
	ds_write_b32 v0, v0
	s_trap 2
.LBB4_1125:
	s_or_b64 exec, exec, s[10:11]
	;;#ASMSTART
	s_wakeup
	;;#ASMEND
.LBB4_1126:
	s_or_b64 exec, exec, s[8:9]
.LBB4_1127:
	s_andn2_saveexec_b64 s[6:7], s[6:7]
	s_cbranch_execz .LBB4_1129
; %bb.1128:
	s_waitcnt lgkmcnt(0)
	buffer_wbinvl1_vol
	s_barrier
.LBB4_1129:
	s_or_b64 exec, exec, s[4:5]
	buffer_load_dword v62, off, s[0:3], s32 ; 4-byte Folded Reload
	s_waitcnt lgkmcnt(0)
	buffer_load_dword v61, off, s[0:3], s32 offset:4 ; 4-byte Folded Reload
	buffer_load_dword v60, off, s[0:3], s32 offset:8 ; 4-byte Folded Reload
	;; [unrolled: 1-line block ×14, first 2 shown]
	v_readlane_b32 s30, v63, 14
	v_readlane_b32 s31, v63, 15
	v_readlane_b32 s55, v63, 13
	v_readlane_b32 s54, v63, 12
	v_readlane_b32 s53, v63, 11
	v_readlane_b32 s52, v63, 10
	v_readlane_b32 s51, v63, 9
	v_readlane_b32 s50, v63, 8
	v_readlane_b32 s49, v63, 7
	v_readlane_b32 s48, v63, 6
	v_readlane_b32 s39, v63, 5
	v_readlane_b32 s38, v63, 4
	v_readlane_b32 s37, v63, 3
	v_readlane_b32 s36, v63, 2
	v_readlane_b32 s35, v63, 1
	v_readlane_b32 s34, v63, 0
	s_or_saveexec_b64 s[4:5], -1
	buffer_load_dword v63, off, s[0:3], s32 offset:268 ; 4-byte Folded Reload
	s_mov_b64 exec, s[4:5]
	s_waitcnt vmcnt(0)
	s_setpc_b64 s[30:31]
.Lfunc_end4:
	.size	_ZN12_GLOBAL__N_17runRingI14__hip_fp8_e5m210FuncMinMaxIS1_E7ProtoLLLi0ELi4ELi0EEEviiP15ncclDevWorkColl, .Lfunc_end4-_ZN12_GLOBAL__N_17runRingI14__hip_fp8_e5m210FuncMinMaxIS1_E7ProtoLLLi0ELi4ELi0EEEviiP15ncclDevWorkColl
                                        ; -- End function
	.set .L_ZN12_GLOBAL__N_17runRingI14__hip_fp8_e5m210FuncMinMaxIS1_E7ProtoLLLi0ELi4ELi0EEEviiP15ncclDevWorkColl.num_vgpr, 64
	.set .L_ZN12_GLOBAL__N_17runRingI14__hip_fp8_e5m210FuncMinMaxIS1_E7ProtoLLLi0ELi4ELi0EEEviiP15ncclDevWorkColl.num_agpr, 0
	.set .L_ZN12_GLOBAL__N_17runRingI14__hip_fp8_e5m210FuncMinMaxIS1_E7ProtoLLLi0ELi4ELi0EEEviiP15ncclDevWorkColl.numbered_sgpr, 96
	.set .L_ZN12_GLOBAL__N_17runRingI14__hip_fp8_e5m210FuncMinMaxIS1_E7ProtoLLLi0ELi4ELi0EEEviiP15ncclDevWorkColl.num_named_barrier, 0
	.set .L_ZN12_GLOBAL__N_17runRingI14__hip_fp8_e5m210FuncMinMaxIS1_E7ProtoLLLi0ELi4ELi0EEEviiP15ncclDevWorkColl.private_seg_size, 276
	.set .L_ZN12_GLOBAL__N_17runRingI14__hip_fp8_e5m210FuncMinMaxIS1_E7ProtoLLLi0ELi4ELi0EEEviiP15ncclDevWorkColl.uses_vcc, 1
	.set .L_ZN12_GLOBAL__N_17runRingI14__hip_fp8_e5m210FuncMinMaxIS1_E7ProtoLLLi0ELi4ELi0EEEviiP15ncclDevWorkColl.uses_flat_scratch, 0
	.set .L_ZN12_GLOBAL__N_17runRingI14__hip_fp8_e5m210FuncMinMaxIS1_E7ProtoLLLi0ELi4ELi0EEEviiP15ncclDevWorkColl.has_dyn_sized_stack, 0
	.set .L_ZN12_GLOBAL__N_17runRingI14__hip_fp8_e5m210FuncMinMaxIS1_E7ProtoLLLi0ELi4ELi0EEEviiP15ncclDevWorkColl.has_recursion, 0
	.set .L_ZN12_GLOBAL__N_17runRingI14__hip_fp8_e5m210FuncMinMaxIS1_E7ProtoLLLi0ELi4ELi0EEEviiP15ncclDevWorkColl.has_indirect_call, 0
	.section	.AMDGPU.csdata,"",@progbits
; Function info:
; codeLenInByte = 29728
; TotalNumSgprs: 100
; NumVgprs: 64
; ScratchSize: 276
; MemoryBound: 0
	.text
	.p2align	2                               ; -- Begin function _Z53ncclDevFunc_ReduceScatter_RING_LL_MinMax_f8e5m2_0_0_4v
	.type	_Z53ncclDevFunc_ReduceScatter_RING_LL_MinMax_f8e5m2_0_0_4v,@function
_Z53ncclDevFunc_ReduceScatter_RING_LL_MinMax_f8e5m2_0_0_4v: ; @_Z53ncclDevFunc_ReduceScatter_RING_LL_MinMax_f8e5m2_0_0_4v
; %bb.0:
	s_waitcnt vmcnt(0) expcnt(0) lgkmcnt(0)
	s_mov_b32 s4, s33
	s_mov_b32 s33, s32
	s_or_saveexec_b64 s[6:7], -1
	buffer_store_dword v43, off, s[0:3], s33 offset:16 ; 4-byte Folded Spill
	s_mov_b64 exec, s[6:7]
	v_writelane_b32 v43, s4, 22
	s_addk_i32 s32, 0x800
	buffer_store_dword v40, off, s[0:3], s33 offset:12 ; 4-byte Folded Spill
	buffer_store_dword v41, off, s[0:3], s33 offset:8 ; 4-byte Folded Spill
	;; [unrolled: 1-line block ×3, first 2 shown]
	buffer_store_dword v63, off, s[0:3], s33 ; 4-byte Folded Spill
	v_writelane_b32 v43, s34, 0
	v_writelane_b32 v43, s35, 1
	;; [unrolled: 1-line block ×22, first 2 shown]
	s_trap 2
	ds_read_b32 v0, v0
	v_mov_b32_e32 v40, v31
	v_and_b32_e32 v41, 0x3ff, v40
	s_mov_b32 s66, s12
	s_mov_b64 s[64:65], s[8:9]
	s_waitcnt lgkmcnt(0)
	v_cmp_lt_i32_e32 vcc, v41, v0
	s_and_saveexec_b64 s[4:5], vcc
	s_cbranch_execz .LBB5_5
; %bb.1:
	s_load_dword s6, s[64:65], 0x0
	v_mov_b32_e32 v1, 0
	s_mov_b32 s10, 0
	v_mov_b32_e32 v4, v41
                                        ; implicit-def: $vgpr3
	s_waitcnt lgkmcnt(0)
	s_cmp_lt_u32 s66, s6
	s_cselect_b32 s6, 12, 18
	s_add_u32 s6, s64, s6
	s_addc_u32 s7, s65, 0
	global_load_ushort v1, v1, s[6:7]
	s_trap 2
	ds_read_b32 v2, v0
	s_mov_b64 s[6:7], 0
	s_waitcnt vmcnt(0) lgkmcnt(0)
	v_mul_lo_u32 v2, v2, v1
	s_branch .LBB5_3
.LBB5_2:                                ;   in Loop: Header=BB5_3 Depth=1
	s_or_b64 exec, exec, s[8:9]
	v_add_u32_e32 v4, v4, v1
	v_cmp_ge_i32_e32 vcc, v4, v0
	s_or_b64 s[6:7], vcc, s[6:7]
	v_add_u32_e32 v3, v3, v2
	s_andn2_b64 exec, exec, s[6:7]
	s_cbranch_execz .LBB5_5
.LBB5_3:                                ; =>This Inner Loop Header: Depth=1
	ds_read_b32 v5, v3
	s_waitcnt lgkmcnt(0)
	v_and_b32_e32 v5, 0x1000000, v5
	v_cmp_ne_u32_e32 vcc, 0, v5
	s_and_saveexec_b64 s[8:9], vcc
	s_cbranch_execz .LBB5_2
; %bb.4:                                ;   in Loop: Header=BB5_3 Depth=1
	ds_read_b64 v[5:6], v3 offset:104
	s_waitcnt lgkmcnt(0)
	flat_load_ubyte v5, v[5:6]
	v_mov_b32_e32 v6, s10
	s_waitcnt vmcnt(0) lgkmcnt(0)
	v_and_b32_e32 v5, 0xffff, v5
	ds_write_b64 v3, v[5:6] offset:104
	s_branch .LBB5_2
.LBB5_5:
	s_or_b64 exec, exec, s[4:5]
	s_waitcnt vmcnt(0) lgkmcnt(0)
	s_barrier
	s_trap 2
	ds_read_b32 v0, v0
	s_waitcnt lgkmcnt(0)
	v_cmp_gt_i32_e32 vcc, 1, v0
	s_cbranch_vccnz .LBB5_13
; %bb.6:
	s_mov_b32 s67, 0
	v_mov_b32_e32 v42, 6
	s_branch .LBB5_8
.LBB5_7:                                ;   in Loop: Header=BB5_8 Depth=1
	s_or_b64 exec, exec, s[68:69]
	s_trap 2
	ds_read_b32 v0, v0
	s_add_i32 s67, s67, 1
	s_waitcnt lgkmcnt(0)
	v_cmp_lt_i32_e32 vcc, s67, v0
	s_cbranch_vccz .LBB5_13
.LBB5_8:                                ; =>This Inner Loop Header: Depth=1
	s_trap 2
	ds_read_b32 v0, v0
	s_cmp_eq_u32 s67, 0
	s_cbranch_scc1 .LBB5_11
; %bb.9:                                ;   in Loop: Header=BB5_8 Depth=1
	s_trap 2
	s_waitcnt lgkmcnt(0)
	ds_read_b32 v1, v0
	s_waitcnt lgkmcnt(0)
	v_xor_b32_e32 v1, v1, v0
	v_and_b32_e32 v1, 0xff0000, v1
	v_cmp_eq_u32_e32 vcc, 0, v1
	s_cbranch_vccnz .LBB5_11
; %bb.10:                               ;   in Loop: Header=BB5_8 Depth=1
	s_barrier
	ds_read_b32 v0, v0
.LBB5_11:                               ;   in Loop: Header=BB5_8 Depth=1
	s_waitcnt lgkmcnt(0)
	v_lshlrev_b32_sdwa v1, v42, v0 dst_sel:DWORD dst_unused:UNUSED_PAD src0_sel:DWORD src1_sel:BYTE_2
	v_cmp_lt_u32_e32 vcc, v41, v1
	s_and_saveexec_b64 s[68:69], vcc
	s_cbranch_execz .LBB5_7
; %bb.12:                               ;   in Loop: Header=BB5_8 Depth=1
	s_mov_b64 s[4:5], src_shared_base
	s_getpc_b64 s[6:7]
	s_add_u32 s6, s6, _ZN12_GLOBAL__N_17runRingI14__hip_fp8_e5m210FuncMinMaxIS1_E7ProtoLLLi0ELi4ELi0EEEviiP15ncclDevWorkColl@rel32@lo+4
	s_addc_u32 s7, s7, _ZN12_GLOBAL__N_17runRingI14__hip_fp8_e5m210FuncMinMaxIS1_E7ProtoLLLi0ELi4ELi0EEEviiP15ncclDevWorkColl@rel32@hi+12
	s_mov_b64 s[8:9], s[64:65]
	s_mov_b32 s12, s66
	v_mov_b32_e32 v31, v40
	v_mov_b32_e32 v0, v41
	;; [unrolled: 1-line block ×3, first 2 shown]
	s_swappc_b64 s[30:31], s[6:7]
	s_branch .LBB5_7
.LBB5_13:
	buffer_load_dword v63, off, s[0:3], s33 ; 4-byte Folded Reload
	buffer_load_dword v42, off, s[0:3], s33 offset:4 ; 4-byte Folded Reload
	buffer_load_dword v41, off, s[0:3], s33 offset:8 ; 4-byte Folded Reload
	;; [unrolled: 1-line block ×3, first 2 shown]
	v_readlane_b32 s30, v43, 20
	v_readlane_b32 s31, v43, 21
	;; [unrolled: 1-line block ×22, first 2 shown]
	s_mov_b32 s32, s33
	v_readlane_b32 s4, v43, 22
	s_or_saveexec_b64 s[6:7], -1
	buffer_load_dword v43, off, s[0:3], s33 offset:16 ; 4-byte Folded Reload
	s_mov_b64 exec, s[6:7]
	s_mov_b32 s33, s4
	s_waitcnt vmcnt(0)
	s_setpc_b64 s[30:31]
.Lfunc_end5:
	.size	_Z53ncclDevFunc_ReduceScatter_RING_LL_MinMax_f8e5m2_0_0_4v, .Lfunc_end5-_Z53ncclDevFunc_ReduceScatter_RING_LL_MinMax_f8e5m2_0_0_4v
                                        ; -- End function
	.set .L_Z53ncclDevFunc_ReduceScatter_RING_LL_MinMax_f8e5m2_0_0_4v.num_vgpr, max(64, .L_ZN12_GLOBAL__N_17runRingI14__hip_fp8_e5m210FuncMinMaxIS1_E7ProtoLLLi0ELi4ELi0EEEviiP15ncclDevWorkColl.num_vgpr)
	.set .L_Z53ncclDevFunc_ReduceScatter_RING_LL_MinMax_f8e5m2_0_0_4v.num_agpr, max(0, .L_ZN12_GLOBAL__N_17runRingI14__hip_fp8_e5m210FuncMinMaxIS1_E7ProtoLLLi0ELi4ELi0EEEviiP15ncclDevWorkColl.num_agpr)
	.set .L_Z53ncclDevFunc_ReduceScatter_RING_LL_MinMax_f8e5m2_0_0_4v.numbered_sgpr, max(70, .L_ZN12_GLOBAL__N_17runRingI14__hip_fp8_e5m210FuncMinMaxIS1_E7ProtoLLLi0ELi4ELi0EEEviiP15ncclDevWorkColl.numbered_sgpr)
	.set .L_Z53ncclDevFunc_ReduceScatter_RING_LL_MinMax_f8e5m2_0_0_4v.num_named_barrier, max(0, .L_ZN12_GLOBAL__N_17runRingI14__hip_fp8_e5m210FuncMinMaxIS1_E7ProtoLLLi0ELi4ELi0EEEviiP15ncclDevWorkColl.num_named_barrier)
	.set .L_Z53ncclDevFunc_ReduceScatter_RING_LL_MinMax_f8e5m2_0_0_4v.private_seg_size, 32+max(.L_ZN12_GLOBAL__N_17runRingI14__hip_fp8_e5m210FuncMinMaxIS1_E7ProtoLLLi0ELi4ELi0EEEviiP15ncclDevWorkColl.private_seg_size)
	.set .L_Z53ncclDevFunc_ReduceScatter_RING_LL_MinMax_f8e5m2_0_0_4v.uses_vcc, or(1, .L_ZN12_GLOBAL__N_17runRingI14__hip_fp8_e5m210FuncMinMaxIS1_E7ProtoLLLi0ELi4ELi0EEEviiP15ncclDevWorkColl.uses_vcc)
	.set .L_Z53ncclDevFunc_ReduceScatter_RING_LL_MinMax_f8e5m2_0_0_4v.uses_flat_scratch, or(0, .L_ZN12_GLOBAL__N_17runRingI14__hip_fp8_e5m210FuncMinMaxIS1_E7ProtoLLLi0ELi4ELi0EEEviiP15ncclDevWorkColl.uses_flat_scratch)
	.set .L_Z53ncclDevFunc_ReduceScatter_RING_LL_MinMax_f8e5m2_0_0_4v.has_dyn_sized_stack, or(0, .L_ZN12_GLOBAL__N_17runRingI14__hip_fp8_e5m210FuncMinMaxIS1_E7ProtoLLLi0ELi4ELi0EEEviiP15ncclDevWorkColl.has_dyn_sized_stack)
	.set .L_Z53ncclDevFunc_ReduceScatter_RING_LL_MinMax_f8e5m2_0_0_4v.has_recursion, or(1, .L_ZN12_GLOBAL__N_17runRingI14__hip_fp8_e5m210FuncMinMaxIS1_E7ProtoLLLi0ELi4ELi0EEEviiP15ncclDevWorkColl.has_recursion)
	.set .L_Z53ncclDevFunc_ReduceScatter_RING_LL_MinMax_f8e5m2_0_0_4v.has_indirect_call, or(0, .L_ZN12_GLOBAL__N_17runRingI14__hip_fp8_e5m210FuncMinMaxIS1_E7ProtoLLLi0ELi4ELi0EEEviiP15ncclDevWorkColl.has_indirect_call)
	.section	.AMDGPU.csdata,"",@progbits
; Function info:
; codeLenInByte = 960
; TotalNumSgprs: 100
; NumVgprs: 64
; ScratchSize: 308
; MemoryBound: 0
	.section	.AMDGPU.gpr_maximums,"",@progbits
	.set amdgpu.max_num_vgpr, 64
	.set amdgpu.max_num_agpr, 0
	.set amdgpu.max_num_sgpr, 96
	.section	.AMDGPU.csdata,"",@progbits
	.type	__hip_cuid_f4e594bd29b687de,@object ; @__hip_cuid_f4e594bd29b687de
	.section	.bss,"aw",@nobits
	.globl	__hip_cuid_f4e594bd29b687de
__hip_cuid_f4e594bd29b687de:
	.byte	0                               ; 0x0
	.size	__hip_cuid_f4e594bd29b687de, 1

	.ident	"AMD clang version 22.0.0git (https://github.com/RadeonOpenCompute/llvm-project roc-7.2.4 26084 f58b06dce1f9c15707c5f808fd002e18c2accf7e)"
	.section	".note.GNU-stack","",@progbits
	.addrsig
	.addrsig_sym _Z53ncclDevFunc_ReduceScatter_RING_LL_MinMax_f8e5m2_0_0_1v
	.addrsig_sym _Z53ncclDevFunc_ReduceScatter_RING_LL_MinMax_f8e5m2_0_0_2v
	.addrsig_sym _Z53ncclDevFunc_ReduceScatter_RING_LL_MinMax_f8e5m2_0_0_4v
	.addrsig_sym ncclShmem
	.addrsig_sym __hip_cuid_f4e594bd29b687de
	.amdgpu_metadata
---
amdhsa.kernels:  []
amdhsa.target:   amdgcn-amd-amdhsa--gfx906
amdhsa.version:
  - 1
  - 2
...

	.end_amdgpu_metadata
